;; amdgpu-corpus repo=ROCm/rocFFT kind=compiled arch=gfx950 opt=O3
	.text
	.amdgcn_target "amdgcn-amd-amdhsa--gfx950"
	.amdhsa_code_object_version 6
	.protected	fft_rtc_fwd_len1600_factors_10_16_10_wgs_200_tpt_100_halfLds_sp_op_CI_CI_unitstride_sbrr_dirReg ; -- Begin function fft_rtc_fwd_len1600_factors_10_16_10_wgs_200_tpt_100_halfLds_sp_op_CI_CI_unitstride_sbrr_dirReg
	.globl	fft_rtc_fwd_len1600_factors_10_16_10_wgs_200_tpt_100_halfLds_sp_op_CI_CI_unitstride_sbrr_dirReg
	.p2align	8
	.type	fft_rtc_fwd_len1600_factors_10_16_10_wgs_200_tpt_100_halfLds_sp_op_CI_CI_unitstride_sbrr_dirReg,@function
fft_rtc_fwd_len1600_factors_10_16_10_wgs_200_tpt_100_halfLds_sp_op_CI_CI_unitstride_sbrr_dirReg: ; @fft_rtc_fwd_len1600_factors_10_16_10_wgs_200_tpt_100_halfLds_sp_op_CI_CI_unitstride_sbrr_dirReg
; %bb.0:
	s_load_dwordx4 s[8:11], s[0:1], 0x58
	s_load_dwordx4 s[4:7], s[0:1], 0x0
	;; [unrolled: 1-line block ×3, first 2 shown]
	v_mul_u32_u24_e32 v1, 0x290, v0
	v_lshrrev_b32_e32 v54, 16, v1
	v_lshl_add_u32 v8, s2, 1, v54
	v_mov_b32_e32 v6, 0
	s_waitcnt lgkmcnt(0)
	v_cmp_lt_u64_e64 s[2:3], s[6:7], 2
	v_mov_b32_e32 v9, v6
	s_and_b64 vcc, exec, s[2:3]
	v_mov_b64_e32 v[42:43], 0
	s_cbranch_vccnz .LBB0_8
; %bb.1:
	s_load_dwordx2 s[2:3], s[0:1], 0x10
	s_add_u32 s16, s14, 8
	s_addc_u32 s17, s15, 0
	s_add_u32 s18, s12, 8
	s_addc_u32 s19, s13, 0
	s_waitcnt lgkmcnt(0)
	s_add_u32 s20, s2, 8
	v_mov_b64_e32 v[42:43], 0
	s_addc_u32 s21, s3, 0
	s_mov_b64 s[22:23], 1
	v_mov_b64_e32 v[2:3], v[42:43]
.LBB0_2:                                ; =>This Inner Loop Header: Depth=1
	s_load_dwordx2 s[24:25], s[20:21], 0x0
                                        ; implicit-def: $vgpr4_vgpr5
	s_waitcnt lgkmcnt(0)
	v_or_b32_e32 v7, s25, v9
	v_cmp_ne_u64_e32 vcc, 0, v[6:7]
	s_and_saveexec_b64 s[2:3], vcc
	s_xor_b64 s[26:27], exec, s[2:3]
	s_cbranch_execz .LBB0_4
; %bb.3:                                ;   in Loop: Header=BB0_2 Depth=1
	v_cvt_f32_u32_e32 v1, s24
	v_cvt_f32_u32_e32 v4, s25
	s_sub_u32 s2, 0, s24
	s_subb_u32 s3, 0, s25
	v_fmac_f32_e32 v1, 0x4f800000, v4
	v_rcp_f32_e32 v1, v1
	s_nop 0
	v_mul_f32_e32 v1, 0x5f7ffffc, v1
	v_mul_f32_e32 v4, 0x2f800000, v1
	v_trunc_f32_e32 v4, v4
	v_fmac_f32_e32 v1, 0xcf800000, v4
	v_cvt_u32_f32_e32 v7, v4
	v_cvt_u32_f32_e32 v1, v1
	v_mul_lo_u32 v4, s2, v7
	v_mul_hi_u32 v10, s2, v1
	v_mul_lo_u32 v5, s3, v1
	v_add_u32_e32 v10, v10, v4
	v_mul_lo_u32 v12, s2, v1
	v_add_u32_e32 v13, v10, v5
	v_mul_hi_u32 v4, v1, v12
	v_mul_hi_u32 v11, v1, v13
	v_mul_lo_u32 v10, v1, v13
	v_mov_b32_e32 v5, v6
	v_lshl_add_u64 v[4:5], v[4:5], 0, v[10:11]
	v_mul_hi_u32 v11, v7, v12
	v_mul_lo_u32 v12, v7, v12
	v_add_co_u32_e32 v4, vcc, v4, v12
	v_mul_hi_u32 v10, v7, v13
	s_nop 0
	v_addc_co_u32_e32 v4, vcc, v5, v11, vcc
	v_mov_b32_e32 v5, v6
	s_nop 0
	v_addc_co_u32_e32 v11, vcc, 0, v10, vcc
	v_mul_lo_u32 v10, v7, v13
	v_lshl_add_u64 v[4:5], v[4:5], 0, v[10:11]
	v_add_co_u32_e32 v1, vcc, v1, v4
	v_mul_lo_u32 v10, s2, v1
	s_nop 0
	v_addc_co_u32_e32 v7, vcc, v7, v5, vcc
	v_mul_lo_u32 v4, s2, v7
	v_mul_hi_u32 v5, s2, v1
	v_add_u32_e32 v4, v5, v4
	v_mul_lo_u32 v5, s3, v1
	v_add_u32_e32 v12, v4, v5
	v_mul_hi_u32 v14, v7, v10
	v_mul_lo_u32 v15, v7, v10
	v_mul_hi_u32 v5, v1, v12
	v_mul_lo_u32 v4, v1, v12
	v_mul_hi_u32 v10, v1, v10
	v_mov_b32_e32 v11, v6
	v_lshl_add_u64 v[4:5], v[10:11], 0, v[4:5]
	v_add_co_u32_e32 v4, vcc, v4, v15
	v_mul_hi_u32 v13, v7, v12
	s_nop 0
	v_addc_co_u32_e32 v4, vcc, v5, v14, vcc
	v_mul_lo_u32 v10, v7, v12
	s_nop 0
	v_addc_co_u32_e32 v11, vcc, 0, v13, vcc
	v_mov_b32_e32 v5, v6
	v_lshl_add_u64 v[4:5], v[4:5], 0, v[10:11]
	v_add_co_u32_e32 v1, vcc, v1, v4
	v_mul_hi_u32 v10, v8, v1
	s_nop 0
	v_addc_co_u32_e32 v7, vcc, v7, v5, vcc
	v_mad_u64_u32 v[4:5], s[2:3], v8, v7, 0
	v_mov_b32_e32 v11, v6
	v_lshl_add_u64 v[4:5], v[10:11], 0, v[4:5]
	v_mad_u64_u32 v[12:13], s[2:3], v9, v1, 0
	v_add_co_u32_e32 v1, vcc, v4, v12
	v_mad_u64_u32 v[10:11], s[2:3], v9, v7, 0
	s_nop 0
	v_addc_co_u32_e32 v4, vcc, v5, v13, vcc
	v_mov_b32_e32 v5, v6
	s_nop 0
	v_addc_co_u32_e32 v11, vcc, 0, v11, vcc
	v_lshl_add_u64 v[4:5], v[4:5], 0, v[10:11]
	v_mul_lo_u32 v1, s25, v4
	v_mul_lo_u32 v7, s24, v5
	v_mad_u64_u32 v[10:11], s[2:3], s24, v4, 0
	v_add3_u32 v1, v11, v7, v1
	v_sub_u32_e32 v7, v9, v1
	v_mov_b32_e32 v11, s25
	v_sub_co_u32_e32 v14, vcc, v8, v10
	v_lshl_add_u64 v[12:13], v[4:5], 0, 1
	s_nop 0
	v_subb_co_u32_e64 v7, s[2:3], v7, v11, vcc
	v_subrev_co_u32_e64 v10, s[2:3], s24, v14
	v_subb_co_u32_e32 v1, vcc, v9, v1, vcc
	s_nop 0
	v_subbrev_co_u32_e64 v7, s[2:3], 0, v7, s[2:3]
	v_cmp_le_u32_e64 s[2:3], s25, v7
	v_cmp_le_u32_e32 vcc, s25, v1
	s_nop 0
	v_cndmask_b32_e64 v11, 0, -1, s[2:3]
	v_cmp_le_u32_e64 s[2:3], s24, v10
	s_nop 1
	v_cndmask_b32_e64 v10, 0, -1, s[2:3]
	v_cmp_eq_u32_e64 s[2:3], s25, v7
	s_nop 1
	v_cndmask_b32_e64 v7, v11, v10, s[2:3]
	v_lshl_add_u64 v[10:11], v[4:5], 0, 2
	v_cmp_ne_u32_e64 s[2:3], 0, v7
	s_nop 1
	v_cndmask_b32_e64 v7, v13, v11, s[2:3]
	v_cndmask_b32_e64 v11, 0, -1, vcc
	v_cmp_le_u32_e32 vcc, s24, v14
	s_nop 1
	v_cndmask_b32_e64 v13, 0, -1, vcc
	v_cmp_eq_u32_e32 vcc, s25, v1
	s_nop 1
	v_cndmask_b32_e32 v1, v11, v13, vcc
	v_cmp_ne_u32_e32 vcc, 0, v1
	v_cndmask_b32_e64 v1, v12, v10, s[2:3]
	s_nop 0
	v_cndmask_b32_e32 v5, v5, v7, vcc
	v_cndmask_b32_e32 v4, v4, v1, vcc
.LBB0_4:                                ;   in Loop: Header=BB0_2 Depth=1
	s_andn2_saveexec_b64 s[2:3], s[26:27]
	s_cbranch_execz .LBB0_6
; %bb.5:                                ;   in Loop: Header=BB0_2 Depth=1
	v_cvt_f32_u32_e32 v1, s24
	s_sub_i32 s26, 0, s24
	v_rcp_iflag_f32_e32 v1, v1
	s_nop 0
	v_mul_f32_e32 v1, 0x4f7ffffe, v1
	v_cvt_u32_f32_e32 v1, v1
	v_mul_lo_u32 v4, s26, v1
	v_mul_hi_u32 v4, v1, v4
	v_add_u32_e32 v1, v1, v4
	v_mul_hi_u32 v1, v8, v1
	v_mul_lo_u32 v4, v1, s24
	v_sub_u32_e32 v4, v8, v4
	v_add_u32_e32 v5, 1, v1
	v_subrev_u32_e32 v7, s24, v4
	v_cmp_le_u32_e32 vcc, s24, v4
	s_nop 1
	v_cndmask_b32_e32 v4, v4, v7, vcc
	v_cndmask_b32_e32 v1, v1, v5, vcc
	v_add_u32_e32 v5, 1, v1
	v_cmp_le_u32_e32 vcc, s24, v4
	s_nop 1
	v_cndmask_b32_e32 v4, v1, v5, vcc
	v_mov_b32_e32 v5, v6
.LBB0_6:                                ;   in Loop: Header=BB0_2 Depth=1
	s_or_b64 exec, exec, s[2:3]
	v_mad_u64_u32 v[10:11], s[2:3], v4, s24, 0
	s_load_dwordx2 s[2:3], s[18:19], 0x0
	v_mul_lo_u32 v1, v5, s24
	v_mul_lo_u32 v7, v4, s25
	s_load_dwordx2 s[24:25], s[16:17], 0x0
	s_add_u32 s22, s22, 1
	v_add3_u32 v1, v11, v7, v1
	v_sub_co_u32_e32 v7, vcc, v8, v10
	s_addc_u32 s23, s23, 0
	s_nop 0
	v_subb_co_u32_e32 v1, vcc, v9, v1, vcc
	s_add_u32 s16, s16, 8
	s_waitcnt lgkmcnt(0)
	v_mul_lo_u32 v8, s2, v1
	v_mul_lo_u32 v9, s3, v7
	v_mad_u64_u32 v[42:43], s[2:3], s2, v7, v[42:43]
	s_addc_u32 s17, s17, 0
	v_add3_u32 v43, v9, v43, v8
	v_mul_lo_u32 v1, s24, v1
	v_mul_lo_u32 v8, s25, v7
	v_mad_u64_u32 v[2:3], s[2:3], s24, v7, v[2:3]
	s_add_u32 s18, s18, 8
	v_add3_u32 v3, v8, v3, v1
	s_addc_u32 s19, s19, 0
	v_mov_b64_e32 v[8:9], s[6:7]
	s_add_u32 s20, s20, 8
	v_cmp_ge_u64_e32 vcc, s[22:23], v[8:9]
	s_addc_u32 s21, s21, 0
	s_cbranch_vccnz .LBB0_9
; %bb.7:                                ;   in Loop: Header=BB0_2 Depth=1
	v_mov_b64_e32 v[8:9], v[4:5]
	s_branch .LBB0_2
.LBB0_8:
	v_mov_b64_e32 v[2:3], v[42:43]
	v_mov_b64_e32 v[4:5], v[8:9]
.LBB0_9:
	s_load_dwordx2 s[2:3], s[0:1], 0x28
	s_lshl_b64 s[16:17], s[6:7], 3
	s_add_u32 s6, s14, s16
	s_addc_u32 s7, s15, s17
                                        ; implicit-def: $vgpr72
	s_waitcnt lgkmcnt(0)
	v_cmp_gt_u64_e64 s[0:1], s[2:3], v[4:5]
	v_cmp_le_u64_e32 vcc, s[2:3], v[4:5]
	s_and_saveexec_b64 s[2:3], vcc
	s_xor_b64 s[2:3], exec, s[2:3]
; %bb.10:
	s_mov_b32 s14, 0x28f5c29
	v_mul_hi_u32 v1, v0, s14
	v_mul_u32_u24_e32 v1, 0x64, v1
	v_sub_u32_e32 v72, v0, v1
                                        ; implicit-def: $vgpr0
                                        ; implicit-def: $vgpr42_vgpr43
; %bb.11:
	s_or_saveexec_b64 s[2:3], s[2:3]
	s_load_dwordx2 s[6:7], s[6:7], 0x0
                                        ; implicit-def: $vgpr26
                                        ; implicit-def: $vgpr28
                                        ; implicit-def: $vgpr12
                                        ; implicit-def: $vgpr14
                                        ; implicit-def: $vgpr30
                                        ; implicit-def: $vgpr32
                                        ; implicit-def: $vgpr36
                                        ; implicit-def: $vgpr34
                                        ; implicit-def: $vgpr22
                                        ; implicit-def: $vgpr24
                                        ; implicit-def: $vgpr38
                                        ; implicit-def: $vgpr6
                                        ; implicit-def: $vgpr44
                                        ; implicit-def: $vgpr10
                                        ; implicit-def: $vgpr20
                                        ; implicit-def: $vgpr46
                                        ; implicit-def: $vgpr40
                                        ; implicit-def: $vgpr18
                                        ; implicit-def: $vgpr16
                                        ; implicit-def: $vgpr9
	s_xor_b64 exec, exec, s[2:3]
	s_cbranch_execz .LBB0_15
; %bb.12:
	s_add_u32 s12, s12, s16
	s_addc_u32 s13, s13, s17
	s_load_dwordx2 s[12:13], s[12:13], 0x0
	s_mov_b32 s14, 0x28f5c29
	v_mov_b32_e32 v9, 0
	v_mov_b32_e32 v11, v9
                                        ; implicit-def: $vgpr17
                                        ; implicit-def: $vgpr19
                                        ; implicit-def: $vgpr25
                                        ; implicit-def: $vgpr23
                                        ; implicit-def: $vgpr35
                                        ; implicit-def: $vgpr37
                                        ; implicit-def: $vgpr33
                                        ; implicit-def: $vgpr31
                                        ; implicit-def: $vgpr15
	s_waitcnt lgkmcnt(0)
	v_mul_lo_u32 v1, s13, v4
	v_mul_lo_u32 v8, s12, v5
	v_mad_u64_u32 v[6:7], s[12:13], s12, v4, 0
	v_add3_u32 v7, v7, v8, v1
	v_mul_hi_u32 v1, v0, s14
	v_mul_u32_u24_e32 v1, 0x64, v1
	v_sub_u32_e32 v72, v0, v1
	v_lshl_add_u64 v[0:1], v[6:7], 3, s[8:9]
	v_lshlrev_b32_e32 v8, 3, v72
	v_lshl_add_u64 v[6:7], v[42:43], 3, v[0:1]
	v_or_b32_e32 v10, 0x1400, v8
	v_lshl_add_u64 v[38:39], v[6:7], 0, v[8:9]
	v_lshl_add_u64 v[10:11], v[6:7], 0, v[10:11]
	s_movk_i32 s8, 0x1000
	v_or_b32_e32 v8, 0x2800, v8
	global_load_dwordx2 v[0:1], v[38:39], off
	global_load_dwordx2 v[28:29], v[10:11], off
	v_add_co_u32_e32 v10, vcc, s8, v38
	v_lshl_add_u64 v[12:13], v[6:7], 0, v[8:9]
	s_nop 0
	v_addc_co_u32_e32 v11, vcc, 0, v39, vcc
	global_load_dwordx2 v[42:43], v[12:13], off
	global_load_dwordx2 v[44:45], v[38:39], off offset:3840
	global_load_dwordx2 v[26:27], v[38:39], off offset:2560
	;; [unrolled: 1-line block ×5, first 2 shown]
	v_add_co_u32_e32 v12, vcc, 0x2000, v38
	s_nop 1
	v_addc_co_u32_e32 v13, vcc, 0, v39, vcc
	global_load_dwordx2 v[10:11], v[12:13], off offset:768
	global_load_dwordx2 v[20:21], v[12:13], off offset:3328
	v_cmp_gt_u32_e32 vcc, 60, v72
                                        ; implicit-def: $vgpr13
	s_and_saveexec_b64 s[8:9], vcc
	s_cbranch_execz .LBB0_14
; %bb.13:
	v_add_co_u32_e32 v16, vcc, 0x1000, v38
	s_nop 1
	v_addc_co_u32_e32 v17, vcc, 0, v39, vcc
	v_add_co_u32_e32 v18, vcc, 0x2000, v38
	global_load_dwordx2 v[12:13], v[38:39], off offset:3360
	global_load_dwordx2 v[24:25], v[16:17], off offset:544
	v_addc_co_u32_e32 v19, vcc, 0, v39, vcc
	global_load_dwordx2 v[40:41], v[16:17], off offset:1824
	global_load_dwordx2 v[34:35], v[16:17], off offset:3104
	global_load_dwordx2 v[48:49], v[18:19], off offset:288
	global_load_dwordx2 v[36:37], v[18:19], off offset:1568
	global_load_dwordx2 v[14:15], v[18:19], off offset:2848
	v_add_co_u32_e32 v22, vcc, 0x3000, v38
	s_waitcnt vmcnt(4)
	v_mov_b32_e32 v31, v40
	v_addc_co_u32_e32 v23, vcc, 0, v39, vcc
	global_load_dwordx2 v[50:51], v[22:23], off offset:32
	global_load_dwordx2 v[18:19], v[38:39], off offset:800
	;; [unrolled: 1-line block ×3, first 2 shown]
	v_mov_b32_e32 v30, v12
	v_mov_b32_e32 v23, v25
	s_waitcnt vmcnt(6)
	v_mov_b32_e32 v22, v35
	v_mov_b32_e32 v35, v24
	s_waitcnt vmcnt(4)
	;; [unrolled: 3-line block ×3, first 2 shown]
	v_mov_b32_e32 v32, v14
	v_mov_b32_e32 v14, v49
	;; [unrolled: 1-line block ×3, first 2 shown]
	s_waitcnt vmcnt(2)
	v_mov_b32_e32 v25, v51
	v_mov_b32_e32 v37, v50
.LBB0_14:
	s_or_b64 exec, exec, s[8:9]
	s_waitcnt vmcnt(9)
	v_mov_b32_e32 v38, v1
	s_waitcnt vmcnt(8)
	v_mov_b32_e32 v39, v29
	;; [unrolled: 2-line block ×3, first 2 shown]
	v_mov_b32_e32 v41, v0
	s_waitcnt vmcnt(3)
	v_mov_b32_e32 v29, v8
	v_mov_b32_e32 v27, v42
	v_mov_b32_e32 v8, v43
.LBB0_15:
	s_or_b64 exec, exec, s[2:3]
	s_mov_b32 s14, 0x3f737871
	s_waitcnt vmcnt(1)
	v_pk_add_f32 v[52:53], v[6:7], v[10:11] neg_lo:[0,1] neg_hi:[0,1]
	s_waitcnt vmcnt(0)
	v_pk_add_f32 v[48:49], v[44:45], v[20:21]
	s_mov_b32 s12, 0x3f167918
	v_pk_add_f32 v[42:43], v[44:45], v[20:21] neg_lo:[0,1] neg_hi:[0,1]
	v_pk_fma_f32 v[50:51], v[48:49], 0.5, v[46:47] op_sel_hi:[1,0,1] neg_lo:[1,0,0] neg_hi:[1,0,0]
	v_pk_mul_f32 v[56:57], v[52:53], s[14:15] op_sel_hi:[1,0]
	v_pk_mul_f32 v[58:59], v[42:43], s[12:13] op_sel_hi:[1,0]
	v_pk_add_f32 v[48:49], v[56:57], v[50:51] op_sel:[1,0] op_sel_hi:[0,1]
	v_pk_add_f32 v[60:61], v[6:7], v[44:45] neg_lo:[0,1] neg_hi:[0,1]
	v_pk_add_f32 v[62:63], v[10:11], v[20:21] neg_lo:[0,1] neg_hi:[0,1]
	v_pk_add_f32 v[50:51], v[50:51], v[56:57] op_sel:[0,1] op_sel_hi:[1,0] neg_lo:[0,1] neg_hi:[0,1]
	s_mov_b32 s8, 0x3e9e377a
	s_mov_b32 s9, s12
	v_pk_add_f32 v[48:49], v[48:49], v[58:59] op_sel:[0,1] op_sel_hi:[1,0] neg_lo:[0,1] neg_hi:[0,1]
	v_pk_add_f32 v[60:61], v[60:61], v[62:63]
	v_pk_add_f32 v[50:51], v[58:59], v[50:51] op_sel:[1,0] op_sel_hi:[0,1]
	v_pk_add_f32 v[56:57], v[6:7], v[10:11]
	v_pk_fma_f32 v[48:49], v[60:61], s[8:9], v[48:49] op_sel_hi:[1,0,1]
	v_pk_fma_f32 v[50:51], v[60:61], s[8:9], v[50:51] op_sel_hi:[1,0,1]
	v_pk_fma_f32 v[56:57], v[56:57], 0.5, v[46:47] op_sel_hi:[1,0,1] neg_lo:[1,0,0] neg_hi:[1,0,0]
	v_pk_add_f32 v[58:59], v[44:45], v[6:7] neg_lo:[0,1] neg_hi:[0,1]
	v_pk_add_f32 v[60:61], v[20:21], v[10:11] neg_lo:[0,1] neg_hi:[0,1]
	v_pk_mul_f32 v[42:43], v[42:43], s[14:15] op_sel_hi:[1,0]
	v_pk_add_f32 v[0:1], v[46:47], v[44:45]
	v_pk_add_f32 v[58:59], v[58:59], v[60:61]
	v_pk_add_f32 v[62:63], v[56:57], v[42:43] op_sel:[0,1] op_sel_hi:[1,0]
	v_pk_mul_f32 v[52:53], v[52:53], s[12:13] op_sel_hi:[1,0]
	v_pk_mul_f32 v[60:61], v[58:59], s[8:9] op_sel_hi:[1,0]
	v_pk_add_f32 v[42:43], v[56:57], v[42:43] op_sel:[0,1] op_sel_hi:[1,0] neg_lo:[0,1] neg_hi:[0,1]
	v_mov_b32_e32 v0, v7
	v_mov_b32_e32 v47, v53
	v_mov_b32_e32 v45, v62
	v_add_f32_e32 v7, v27, v26
	v_pk_add_f32 v[42:43], v[42:43], v[52:53] op_sel:[0,1] op_sel_hi:[1,0] neg_lo:[0,1] neg_hi:[0,1]
	v_pk_add_f32 v[56:57], v[62:63], v[52:53] op_sel:[0,1] op_sel_hi:[1,0]
	v_pk_add_f32 v[44:45], v[46:47], v[44:45]
	v_mul_f32_e32 v47, 0.5, v7
	v_mov_b32_e32 v7, v60
	v_mov_b32_e32 v56, v42
	;; [unrolled: 1-line block ×4, first 2 shown]
	v_pk_add_f32 v[44:45], v[44:45], v[6:7]
	v_mov_b32_e32 v7, 0x3f4f1bbd
	v_mov_b32_e32 v6, v10
	v_pk_add_f32 v[42:43], v[42:43], v[0:1]
	v_pk_add_f32 v[0:1], v[26:27], v[28:29] neg_lo:[0,1] neg_hi:[0,1]
	v_pk_add_f32 v[60:61], v[44:45], v[10:11]
	v_pk_mul_f32 v[6:7], v[44:45], v[6:7]
	v_mov_b32_e32 v52, v1
	v_mov_b32_e32 v53, v9
	;; [unrolled: 1-line block ×3, first 2 shown]
	v_mul_f32_e32 v7, 0x3f167918, v43
	v_mov_b32_e32 v6, v20
	v_mov_b32_e32 v46, v8
	v_pk_add_f32 v[64:65], v[38:39], v[52:53] neg_lo:[0,1] neg_hi:[0,1]
	v_pk_add_f32 v[6:7], v[60:61], v[6:7]
	v_pk_add_f32 v[60:61], v[40:41], v[46:47] neg_lo:[0,1] neg_hi:[0,1]
	v_pk_add_f32 v[0:1], v[0:1], v[52:53]
	v_mul_f32_e32 v53, 0x3f737871, v65
	v_mov_b32_e32 v52, 0x3f167918
	v_pk_mul_f32 v[62:63], v[60:61], s[12:13]
	v_fmamk_f32 v46, v65, 0xbf737871, v61
	v_mov_b32_e32 v47, v62
	v_pk_add_f32 v[62:63], v[60:61], v[52:53]
	v_mov_b32_e32 v1, v65
	v_pk_add_f32 v[62:63], v[62:63], v[46:47] neg_lo:[0,1] neg_hi:[0,1]
	v_pk_fma_f32 v[46:47], v[60:61], v[52:53], v[46:47]
	v_mul_f32_e32 v67, 0x3f737871, v60
	v_mov_b32_e32 v47, v63
	v_pk_add_f32 v[62:63], v[28:29], v[26:27] neg_lo:[0,1] neg_hi:[0,1]
	v_mov_b32_e32 v66, v28
	v_add_f32_e32 v10, v62, v63
	v_mul_f32_e32 v10, 0x3e9e377a, v10
	v_pk_add_f32 v[62:63], v[10:11], v[46:47] op_sel_hi:[0,1]
	v_add_f32_e32 v10, v29, v28
	v_mul_f32_e32 v47, 0.5, v10
	v_mov_b32_e32 v46, v26
	v_mov_b32_e32 v10, v41
	v_pk_add_f32 v[64:65], v[10:11], v[46:47] op_sel_hi:[0,1] neg_lo:[0,1] neg_hi:[0,1]
	v_pk_add_f32 v[46:47], v[10:11], v[26:27] op_sel_hi:[0,1]
	v_mov_b32_e32 v47, v65
	v_pk_mul_f32 v[0:1], v[0:1], s[8:9]
	v_pk_add_f32 v[46:47], v[46:47], v[66:67]
	v_mov_b32_e32 v66, v29
	v_mov_b32_e32 v67, v1
	v_pk_add_f32 v[46:47], v[46:47], v[66:67]
	v_mov_b32_e32 v66, v27
	v_mov_b32_e32 v67, v0
	s_mov_b32 s2, s8
	s_mov_b32 s3, s14
	v_pk_add_f32 v[66:67], v[46:47], v[66:67]
	v_and_b32_e32 v10, 1, v54
	v_pk_mul_f32 v[46:47], v[48:49], s[2:3]
	v_mov_b32_e32 v20, 0x640
	v_cmp_eq_u32_e32 vcc, 1, v10
	v_pk_fma_f32 v[54:55], v[50:51], s[2:3], v[46:47] op_sel:[0,0,1] op_sel_hi:[1,1,0]
	v_pk_fma_f32 v[70:71], v[50:51], s[2:3], v[46:47] op_sel:[0,0,1] op_sel_hi:[1,1,0] neg_lo:[0,0,1] neg_hi:[0,0,1]
	v_cndmask_b32_e32 v20, 0, v20, vcc
	v_mov_b32_e32 v55, v71
	v_mad_u32_u24 v44, v72, 40, 0
	v_lshl_add_u32 v73, v20, 2, v44
	v_pk_add_f32 v[46:47], v[62:63], v[54:55]
	v_pk_add_f32 v[68:69], v[66:67], v[6:7]
	ds_write2_b64 v73, v[68:69], v[46:47] offset1:1
	v_pk_fma_f32 v[46:47], v[58:59], s[8:9], v[56:57] op_sel_hi:[1,0,1]
	v_fmac_f32_e32 v65, 0xbf737871, v60
	v_sub_f32_e32 v1, v65, v1
	v_mov_b32_e32 v55, v54
	v_mov_b32_e32 v54, v7
	;; [unrolled: 1-line block ×3, first 2 shown]
	v_mul_f32_e32 v6, 0x3f4f1bbd, v46
	v_add_f32_e32 v0, v0, v1
	v_mov_b32_e32 v1, v66
	v_mov_b32_e32 v56, v67
	;; [unrolled: 1-line block ×3, first 2 shown]
	v_fma_f32 v6, v47, s12, -v6
	v_pk_add_f32 v[54:55], v[56:57], v[54:55] neg_lo:[0,1] neg_hi:[0,1]
	v_pk_add_f32 v[56:57], v[0:1], v[6:7]
	v_pk_add_f32 v[58:59], v[0:1], v[6:7] neg_lo:[0,1] neg_hi:[0,1]
	v_mov_b32_e32 v60, v37
	v_mov_b32_e32 v57, v59
	ds_write2_b64 v73, v[56:57], v[54:55] offset0:2 offset1:3
	v_mov_b32_e32 v54, v35
	v_mov_b32_e32 v55, v36
	v_mov_b32_e32 v56, v37
	v_mov_b32_e32 v57, v34
	v_pk_add_f32 v[54:55], v[54:55], v[56:57]
	v_mov_b32_e32 v56, v23
	v_mov_b32_e32 v57, v24
	;; [unrolled: 1-line block ×4, first 2 shown]
	v_pk_add_f32 v[56:57], v[56:57], v[58:59]
	v_mov_b32_e32 v58, v35
	v_mov_b32_e32 v59, v34
	;; [unrolled: 1-line block ×3, first 2 shown]
	v_pk_add_f32 v[64:65], v[34:35], v[58:59] neg_lo:[0,1] neg_hi:[0,1]
	v_pk_add_f32 v[58:59], v[58:59], v[60:61] neg_lo:[0,1] neg_hi:[0,1]
	;; [unrolled: 1-line block ×3, first 2 shown]
	v_mov_b32_e32 v66, v25
	v_pk_add_f32 v[60:61], v[60:61], v[64:65]
	v_mov_b32_e32 v64, v23
	v_mov_b32_e32 v65, v22
	;; [unrolled: 1-line block ×4, first 2 shown]
	v_pk_add_f32 v[64:65], v[22:23], v[64:65] neg_lo:[0,1] neg_hi:[0,1]
	v_pk_add_f32 v[66:67], v[24:25], v[66:67] neg_lo:[0,1] neg_hi:[0,1]
	v_pk_fma_f32 v[56:57], v[56:57], 0.5, v[10:11] op_sel_hi:[1,0,0] neg_lo:[1,0,0] neg_hi:[1,0,0]
	v_pk_add_f32 v[64:65], v[66:67], v[64:65]
	v_pk_mul_f32 v[66:67], v[58:59], s[14:15] op_sel_hi:[1,0]
	v_mov_b32_e32 v74, v33
	v_pk_add_f32 v[68:69], v[56:57], v[66:67] op_sel:[0,1] op_sel_hi:[1,0]
	v_pk_add_f32 v[66:67], v[56:57], v[66:67] op_sel:[0,1] op_sel_hi:[1,0] neg_lo:[0,1] neg_hi:[0,1]
	v_mov_b32_e32 v56, v31
	v_mov_b32_e32 v57, v30
	;; [unrolled: 1-line block ×3, first 2 shown]
	v_pk_add_f32 v[56:57], v[56:57], v[30:31] neg_lo:[0,1] neg_hi:[0,1]
	v_pk_add_f32 v[74:75], v[74:75], v[32:33] neg_lo:[0,1] neg_hi:[0,1]
	v_pk_fma_f32 v[54:55], v[54:55], 0.5, v[16:17] op_sel_hi:[1,0,0] neg_lo:[1,0,0] neg_hi:[1,0,0]
	v_pk_add_f32 v[74:75], v[56:57], v[74:75]
	v_pk_add_f32 v[56:57], v[22:23], v[24:25] neg_lo:[0,1] neg_hi:[0,1]
	s_mov_b32 s9, 0x3f4f1bbd
	v_pk_fma_f32 v[76:77], v[56:57], s[14:15], v[54:55] op_sel_hi:[1,0,1] neg_lo:[1,0,0] neg_hi:[1,0,0]
	v_pk_fma_f32 v[54:55], v[56:57], s[14:15], v[54:55] op_sel_hi:[1,0,1]
	v_mov_b32_e32 v79, v77
	v_mov_b32_e32 v78, v54
	;; [unrolled: 1-line block ×3, first 2 shown]
	v_pk_mul_f32 v[54:55], v[56:57], s[12:13] op_sel_hi:[1,0]
	v_mov_b32_e32 v62, v63
	v_pk_add_f32 v[56:57], v[78:79], v[54:55] op_sel:[0,1] op_sel_hi:[1,0] neg_lo:[0,1] neg_hi:[0,1]
	v_pk_add_f32 v[76:77], v[54:55], v[76:77] op_sel:[1,0] op_sel_hi:[0,1]
	v_pk_fma_f32 v[54:55], v[60:61], s[8:9], v[56:57] op_sel_hi:[1,0,1]
	v_pk_fma_f32 v[56:57], v[60:61], s[8:9], v[76:77] op_sel_hi:[1,0,1]
	v_mov_b32_e32 v60, v66
	v_mov_b32_e32 v61, v69
	;; [unrolled: 1-line block ×3, first 2 shown]
	v_pk_fma_f32 v[60:61], v[58:59], s[12:13], v[60:61] op_sel_hi:[1,0,1]
	v_pk_fma_f32 v[66:67], v[58:59], s[12:13], v[68:69] op_sel_hi:[1,0,1] neg_lo:[1,0,0] neg_hi:[1,0,0]
	v_pk_fma_f32 v[58:59], v[64:65], s[8:9], v[60:61] op_sel_hi:[1,0,1]
	v_pk_fma_f32 v[60:61], v[64:65], s[8:9], v[66:67] op_sel_hi:[1,0,1]
	v_pk_add_f32 v[64:65], v[30:31], v[32:33]
	v_pk_add_f32 v[66:67], v[12:13], v[14:15] neg_lo:[0,1] neg_hi:[0,1]
	v_pk_fma_f32 v[64:65], v[64:65], 0.5, v[18:19] op_sel_hi:[1,0,0] neg_lo:[1,0,0] neg_hi:[1,0,0]
	v_mov_b32_e32 v63, v0
	v_pk_fma_f32 v[68:69], v[66:67], s[14:15], v[64:65] op_sel_hi:[1,0,1] neg_lo:[1,0,0] neg_hi:[1,0,0]
	v_pk_fma_f32 v[64:65], v[66:67], s[14:15], v[64:65] op_sel_hi:[1,0,1]
	v_mov_b32_e32 v0, v71
	v_mov_b32_e32 v1, v6
	;; [unrolled: 1-line block ×5, first 2 shown]
	v_pk_mul_f32 v[64:65], v[66:67], s[12:13] op_sel_hi:[1,0]
	v_pk_add_f32 v[0:1], v[62:63], v[0:1] neg_lo:[0,1] neg_hi:[0,1]
	v_pk_add_f32 v[66:67], v[76:77], v[64:65] op_sel:[0,1] op_sel_hi:[1,0] neg_lo:[0,1] neg_hi:[0,1]
	ds_write_b64 v73, v[0:1] offset:32
	s_mov_b32 s15, s12
	v_pk_mul_f32 v[0:1], v[54:55], s[8:9]
	v_pk_add_f32 v[68:69], v[64:65], v[68:69] op_sel:[1,0] op_sel_hi:[0,1]
	v_pk_fma_f32 v[64:65], v[74:75], s[8:9], v[66:67] op_sel_hi:[1,0,1]
	v_pk_fma_f32 v[66:67], v[58:59], s[14:15], v[0:1] neg_lo:[0,0,1] neg_hi:[0,0,1]
	v_pk_mul_f32 v[0:1], v[56:57], s[8:9]
	v_pk_fma_f32 v[68:69], v[74:75], s[8:9], v[68:69] op_sel_hi:[1,0,1]
	v_pk_fma_f32 v[70:71], v[60:61], s[14:15], v[0:1]
	v_mov_b32_e32 v62, v29
	v_mov_b32_e32 v63, v29
	s_mov_b32 s16, 0xbf737871
	v_cmp_lt_u32_e64 s[2:3], 59, v72
	v_cmp_gt_u32_e32 vcc, 60, v72
	v_pk_add_f32 v[6:7], v[68:69], v[70:71] neg_lo:[0,1] neg_hi:[0,1]
	v_pk_add_f32 v[0:1], v[64:65], v[66:67] neg_lo:[0,1] neg_hi:[0,1]
	s_and_saveexec_b64 s[18:19], vcc
	s_cbranch_execz .LBB0_17
; %bb.16:
	v_pk_add_f32 v[74:75], v[18:19], v[30:31]
	v_mov_b32_e32 v10, v31
	v_pk_add_f32 v[74:75], v[74:75], v[10:11]
	v_mov_b32_e32 v10, v33
	;; [unrolled: 2-line block ×4, first 2 shown]
	v_pk_add_f32 v[34:35], v[76:77], v[34:35]
	v_pk_add_f32 v[74:75], v[32:33], v[74:75]
	;; [unrolled: 1-line block ×3, first 2 shown]
	v_mov_b32_e32 v75, v69
	v_pk_add_f32 v[34:35], v[10:11], v[34:35]
	v_mov_b32_e32 v69, v64
	v_mov_b32_e32 v35, v71
	v_mov_b32_e32 v71, v66
	v_add_u32_e32 v10, 0xfa0, v73
	v_pk_add_f32 v[36:37], v[74:75], v[34:35]
	v_pk_add_f32 v[68:69], v[68:69], v[70:71]
	ds_write2_b64 v10, v[36:37], v[68:69] offset1:1
	v_mov_b32_e32 v10, v65
	v_mov_b32_e32 v35, v74
	;; [unrolled: 1-line block ×5, first 2 shown]
	v_pk_add_f32 v[36:37], v[10:11], v[36:37]
	v_pk_add_f32 v[34:35], v[34:35], v[64:65] neg_lo:[0,1] neg_hi:[0,1]
	v_add_u32_e32 v53, 0xfb0, v73
	v_mov_b32_e32 v37, v35
	v_mov_b32_e32 v34, v7
	;; [unrolled: 1-line block ×3, first 2 shown]
	ds_write2_b64 v53, v[36:37], v[34:35] offset1:1
	ds_write_b64 v73, v[0:1] offset:4032
.LBB0_17:
	s_or_b64 exec, exec, s[18:19]
	v_add_f32_e32 v10, v39, v9
	v_pk_add_f32 v[28:29], v[28:29], v[62:63] neg_lo:[0,1] neg_hi:[0,1]
	v_mov_b32_e32 v62, v39
	v_mov_b32_e32 v63, v9
	;; [unrolled: 1-line block ×4, first 2 shown]
	v_fma_f32 v66, -0.5, v10, v38
	v_add_f32_e32 v10, v40, v8
	v_pk_add_f32 v[62:63], v[62:63], v[64:65] neg_lo:[0,1] neg_hi:[0,1]
	v_mul_f32_e32 v37, 0.5, v10
	v_add_f32_e32 v10, v62, v63
	v_mov_b32_e32 v62, v26
	v_mov_b32_e32 v63, v38
	;; [unrolled: 1-line block ×4, first 2 shown]
	v_pk_add_f32 v[26:27], v[62:63], v[36:37] neg_lo:[0,1] neg_hi:[0,1]
	v_pk_add_f32 v[34:35], v[28:29], v[8:9] neg_lo:[0,1] neg_hi:[0,1]
	v_mov_b32_e32 v29, v26
	s_mov_b32 s13, s14
	v_pk_mul_f32 v[36:37], v[28:29], s[12:13]
	v_mul_f32_e32 v53, 0x3f737871, v28
	v_sub_f32_e32 v29, v66, v37
	v_sub_f32_e32 v64, v29, v36
	v_add_f32_e32 v29, v66, v37
	v_add_f32_e32 v65, v36, v29
	v_pk_mul_f32 v[36:37], v[26:27], s[12:13]
	v_pk_add_f32 v[62:63], v[26:27], v[52:53]
	v_fmamk_f32 v28, v28, 0xbf737871, v27
	v_mov_b32_e32 v29, v36
	v_pk_fma_f32 v[26:27], v[26:27], v[52:53], v[28:29]
	v_pk_add_f32 v[28:29], v[62:63], v[28:29] neg_lo:[0,1] neg_hi:[0,1]
	v_pk_add_f32 v[36:37], v[40:41], v[38:39] op_sel_hi:[0,1] neg_lo:[0,1] neg_hi:[0,1]
	v_mov_b32_e32 v27, v29
	v_pk_add_f32 v[28:29], v[40:41], v[38:39]
	v_mov_b32_e32 v34, v39
	v_mov_b32_e32 v29, v37
	v_pk_add_f32 v[28:29], v[28:29], v[34:35]
	v_mov_b32_e32 v35, 0x3e9e377a
	v_mov_b32_e32 v34, v9
	v_pk_add_f32 v[36:37], v[28:29], v[34:35]
	v_pk_mul_f32 v[28:29], v[28:29], v[34:35]
	v_mov_b32_e32 v9, v64
	v_mov_b32_e32 v37, v29
	v_pk_add_f32 v[34:35], v[36:37], v[8:9]
	v_mov_b32_e32 v8, v11
	v_pk_add_f32 v[36:37], v[42:43], v[8:9]
	v_pk_mul_f32 v[8:9], v[42:43], s[8:9]
	s_mov_b32 s18, 0xbf167918
	s_mov_b32 s19, s9
	v_mul_f32_e32 v10, 0x3e9e377a, v10
	s_mov_b32 s15, s8
	v_mov_b32_e32 v37, v9
	v_pk_mul_f32 v[8:9], v[46:47], s[18:19]
	v_pk_add_f32 v[10:11], v[10:11], v[26:27] op_sel_hi:[0,1]
	s_mov_b32 s17, s8
	v_pk_mul_f32 v[26:27], v[50:51], s[14:15]
	v_mov_b32_e32 v8, v9
	v_add_f32_e32 v28, v29, v65
	v_pk_fma_f32 v[26:27], v[48:49], s[16:17], v[26:27] op_sel:[0,0,1] op_sel_hi:[1,1,0] neg_lo:[0,0,1] neg_hi:[0,0,1]
	v_pk_fma_f32 v[50:51], v[46:47], s[18:19], v[8:9] neg_lo:[0,0,1] neg_hi:[0,0,1]
	v_pk_add_f32 v[62:63], v[10:11], v[26:27]
	v_mov_b32_e32 v53, v11
	v_mov_b32_e32 v11, v28
	;; [unrolled: 1-line block ×4, first 2 shown]
	v_pk_add_f32 v[64:65], v[10:11], v[8:9] neg_lo:[0,1] neg_hi:[0,1]
	v_pk_add_f32 v[8:9], v[12:13], v[14:15]
	v_pk_add_f32 v[10:11], v[30:31], v[32:33] neg_lo:[0,1] neg_hi:[0,1]
	v_pk_add_f32 v[30:31], v[12:13], v[12:13] op_sel:[0,1] op_sel_hi:[1,0] neg_lo:[0,1] neg_hi:[0,1]
	v_pk_add_f32 v[32:33], v[14:15], v[14:15] op_sel:[0,1] op_sel_hi:[1,0] neg_lo:[0,1] neg_hi:[0,1]
	v_pk_fma_f32 v[8:9], -0.5, v[8:9], v[18:19] op_sel:[0,0,1] op_sel_hi:[0,1,1]
	v_pk_add_f32 v[30:31], v[30:31], v[32:33]
	v_pk_fma_f32 v[32:33], v[10:11], s[14:15], v[8:9] op_sel_hi:[1,0,1]
	v_pk_fma_f32 v[8:9], v[10:11], s[14:15], v[8:9] op_sel_hi:[1,0,1] neg_lo:[1,0,0] neg_hi:[1,0,0]
	v_mov_b32_e32 v39, v32
	v_mov_b32_e32 v32, v33
	;; [unrolled: 1-line block ×4, first 2 shown]
	v_pk_fma_f32 v[8:9], v[10:11], s[12:13], v[32:33] op_sel_hi:[1,0,1] neg_lo:[1,0,0] neg_hi:[1,0,0]
	s_mov_b32 s17, s18
	v_pk_fma_f32 v[38:39], v[10:11], s[12:13], v[38:39] op_sel_hi:[1,0,1]
	v_pk_fma_f32 v[46:47], v[30:31], s[8:9], v[8:9] op_sel_hi:[1,0,1]
	v_pk_mul_f32 v[8:9], v[56:57], s[16:17]
	v_pk_fma_f32 v[38:39], v[30:31], s[8:9], v[38:39] op_sel_hi:[1,0,1]
	v_pk_fma_f32 v[48:49], v[60:61], s[8:9], v[8:9]
	v_pk_mul_f32 v[8:9], v[58:59], s[8:9]
	v_mul_f32_e32 v31, 0x3f167918, v45
	v_mov_b32_e32 v30, v21
	v_lshlrev_b32_e32 v58, 2, v20
	v_lshlrev_b32_e32 v20, 2, v72
	v_pk_add_f32 v[32:33], v[36:37], v[30:31]
	v_pk_fma_f32 v[30:31], v[42:43], s[8:9], v[30:31] neg_lo:[0,0,1] neg_hi:[0,0,1]
	v_add3_u32 v56, 0, v58, v20
	v_mul_i32_i24_e32 v20, 0xffffffdc, v72
	v_mov_b32_e32 v52, v35
	v_pk_fma_f32 v[40:41], v[54:55], s[16:17], v[8:9] neg_lo:[0,0,1] neg_hi:[0,0,1]
	v_mov_b32_e32 v26, v31
	v_add3_u32 v55, v44, v20, v58
	v_mov_b32_e32 v30, v32
	v_pk_add_f32 v[66:67], v[28:29], v[50:51]
	v_pk_add_f32 v[70:71], v[52:53], v[26:27] neg_lo:[0,1] neg_hi:[0,1]
	v_add_u32_e32 v50, 0x400, v55
	v_add_u32_e32 v51, 0x600, v55
	;; [unrolled: 1-line block ×6, first 2 shown]
	v_pk_add_f32 v[60:61], v[34:35], v[30:31]
	v_pk_add_f32 v[68:69], v[34:35], v[32:33] neg_lo:[0,1] neg_hi:[0,1]
	s_waitcnt lgkmcnt(0)
	s_barrier
	ds_read2_b32 v[36:37], v55 offset0:100 offset1:200
	ds_read2_b32 v[34:35], v50 offset0:44 offset1:144
	;; [unrolled: 1-line block ×7, first 2 shown]
	ds_read_b32 v44, v56
	ds_read_b32 v42, v55 offset:6000
	v_pk_add_f32 v[10:11], v[46:47], v[48:49] neg_lo:[0,1] neg_hi:[0,1]
	v_pk_add_f32 v[8:9], v[38:39], v[40:41] neg_lo:[0,1] neg_hi:[0,1]
	v_add_u32_e32 v54, 0x64, v72
	v_mov_b32_e32 v74, v63
	v_mov_b32_e32 v75, v62
	;; [unrolled: 1-line block ×3, first 2 shown]
	s_waitcnt lgkmcnt(0)
	s_barrier
	ds_write2_b64 v73, v[60:61], v[74:75] offset1:1
	ds_write2_b64 v73, v[66:67], v[70:71] offset0:2 offset1:3
	ds_write_b64 v73, v[64:65] offset:32
	s_and_saveexec_b64 s[8:9], vcc
	s_cbranch_execz .LBB0_19
; %bb.18:
	v_pk_add_f32 v[18:19], v[18:19], v[12:13]
	s_nop 0
	v_mov_b32_e32 v18, v19
	v_pk_add_f32 v[12:13], v[18:19], v[12:13]
	s_nop 0
	v_pk_add_f32 v[12:13], v[12:13], v[14:15]
	v_mov_b32_e32 v14, v15
	v_pk_add_f32 v[12:13], v[14:15], v[12:13]
	v_pk_add_f32 v[14:15], v[16:17], v[22:23]
	v_mov_b32_e32 v16, v25
	v_mov_b32_e32 v14, v15
	v_pk_add_f32 v[14:15], v[14:15], v[22:23]
	v_mov_b32_e32 v13, v47
	v_pk_add_f32 v[14:15], v[24:25], v[14:15]
	;; [unrolled: 2-line block ×3, first 2 shown]
	v_mov_b32_e32 v24, v41
	v_mov_b32_e32 v15, v49
	v_pk_add_f32 v[16:17], v[12:13], v[14:15]
	v_mov_b32_e32 v13, v12
	v_mov_b32_e32 v12, v41
	;; [unrolled: 1-line block ×3, first 2 shown]
	v_pk_add_f32 v[14:15], v[22:23], v[12:13]
	v_pk_add_f32 v[12:13], v[12:13], v[24:25] neg_lo:[0,1] neg_hi:[0,1]
	v_mov_b32_e32 v47, v38
	v_mov_b32_e32 v49, v40
	v_mul_u32_u24_e32 v12, 40, v54
	v_pk_add_f32 v[18:19], v[46:47], v[48:49]
	v_add3_u32 v22, 0, v12, v58
	v_mov_b32_e32 v15, v13
	v_mov_b32_e32 v12, v11
	;; [unrolled: 1-line block ×3, first 2 shown]
	ds_write2_b64 v22, v[16:17], v[18:19] offset1:1
	ds_write2_b64 v22, v[14:15], v[12:13] offset0:2 offset1:3
	ds_write_b64 v22, v[8:9] offset:32
.LBB0_19:
	s_or_b64 exec, exec, s[8:9]
	s_movk_i32 s8, 0xcd
	v_mul_lo_u16_sdwa v12, v72, s8 dst_sel:DWORD dst_unused:UNUSED_PAD src0_sel:BYTE_0 src1_sel:DWORD
	v_lshrrev_b16_e32 v73, 11, v12
	v_mul_lo_u16_e32 v12, 10, v73
	v_sub_u16_e32 v88, v72, v12
	v_mov_b32_e32 v12, 15
	v_mul_u32_u24_sdwa v12, v88, v12 dst_sel:DWORD dst_unused:UNUSED_PAD src0_sel:BYTE_0 src1_sel:DWORD
	v_lshlrev_b32_e32 v53, 3, v12
	s_waitcnt lgkmcnt(0)
	s_barrier
	global_load_dwordx4 v[12:15], v53, s[4:5]
	global_load_dwordx4 v[16:19], v53, s[4:5] offset:16
	global_load_dwordx4 v[22:25], v53, s[4:5] offset:32
	;; [unrolled: 1-line block ×6, first 2 shown]
	global_load_dwordx2 v[68:69], v53, s[4:5] offset:112
	ds_read2_b32 v[70:71], v55 offset0:100 offset1:200
	ds_read_b32 v53, v56
	ds_read2_b32 v[74:75], v50 offset0:44 offset1:144
	ds_read2_b32 v[50:51], v51 offset0:116 offset1:216
	;; [unrolled: 1-line block ×6, first 2 shown]
	ds_read_b32 v43, v55 offset:6000
	s_waitcnt lgkmcnt(7)
	v_add_f32_e32 v85, v53, v53
	s_mov_b32 s8, 0x3f6c835e
	s_mov_b32 s9, 0x3f3504f3
	;; [unrolled: 1-line block ×4, first 2 shown]
	s_waitcnt lgkmcnt(0)
	s_barrier
	s_waitcnt vmcnt(7)
	v_mul_f32_e32 v45, v70, v13
	v_mul_f32_e32 v87, v36, v13
	v_mul_f32_e32 v13, v71, v15
	v_fma_f32 v13, v37, v14, -v13
	v_mul_f32_e32 v37, v37, v15
	v_fma_f32 v36, v36, v12, -v45
	s_waitcnt vmcnt(6)
	v_mul_f32_e32 v15, v74, v17
	v_fmac_f32_e32 v87, v70, v12
	v_fmac_f32_e32 v37, v71, v14
	v_mul_f32_e32 v12, v34, v17
	v_mul_f32_e32 v14, v35, v19
	;; [unrolled: 1-line block ×3, first 2 shown]
	s_waitcnt vmcnt(5)
	v_mul_f32_e32 v19, v50, v23
	s_waitcnt vmcnt(4)
	v_mul_f32_e32 v45, v76, v39
	v_fmac_f32_e32 v14, v75, v18
	v_mul_f32_e32 v52, v77, v41
	v_fma_f32 v84, v35, v18, -v17
	v_mul_f32_e32 v18, v20, v23
	s_waitcnt vmcnt(3)
	v_mul_f32_e32 v23, v78, v47
	v_fma_f32 v59, v34, v16, -v15
	v_mul_f32_e32 v17, v33, v41
	v_mul_f32_e32 v15, v51, v25
	;; [unrolled: 1-line block ×3, first 2 shown]
	v_fma_f32 v41, v32, v38, -v45
	v_fma_f32 v45, v33, v40, -v52
	v_mul_f32_e32 v33, v30, v47
	v_mul_f32_e32 v25, v21, v25
	s_waitcnt vmcnt(1)
	v_mul_f32_e32 v86, v26, v64
	v_fma_f32 v23, v30, v46, -v23
	v_mul_f32_e32 v30, v26, v65
	v_mul_f32_e32 v26, v83, v67
	;; [unrolled: 1-line block ×5, first 2 shown]
	v_fma_f32 v29, v31, v48, -v35
	v_mul_f32_e32 v31, v27, v67
	v_fmac_f32_e32 v25, v51, v24
	v_fma_f32 v21, v21, v24, -v15
	v_fma_f32 v24, v20, v22, -v19
	;; [unrolled: 1-line block ×3, first 2 shown]
	v_mul_f32_e32 v39, v32, v39
	v_fmac_f32_e32 v31, v83, v66
	v_sub_f32_e32 v26, v13, v29
	v_sub_f32_e32 v29, v21, v19
	v_fmac_f32_e32 v39, v76, v38
	v_fmac_f32_e32 v17, v77, v40
	v_mul_f32_e32 v38, v80, v61
	v_mul_f32_e32 v40, v28, v61
	;; [unrolled: 1-line block ×3, first 2 shown]
	v_fmac_f32_e32 v33, v78, v46
	v_fmac_f32_e32 v49, v79, v48
	s_waitcnt vmcnt(0)
	v_mul_f32_e32 v46, v42, v69
	v_fma_f32 v13, v13, 2.0, -v26
	v_sub_f32_e32 v31, v25, v31
	v_fma_f32 v21, v21, 2.0, -v29
	v_fmac_f32_e32 v12, v74, v16
	v_mul_f32_e32 v35, v43, v69
	v_fma_f32 v20, v28, v60, -v38
	v_fmac_f32_e32 v40, v80, v60
	v_fmac_f32_e32 v46, v43, v68
	v_sub_f32_e32 v28, v37, v49
	v_fma_f32 v27, v25, 2.0, -v31
	v_add_f32_e32 v25, v87, v87
	v_sub_f32_e32 v21, v13, v21
	v_pk_add_f32 v[32:33], v[86:87], v[32:33] neg_lo:[0,1] neg_hi:[0,1]
	v_fmac_f32_e32 v18, v50, v22
	v_fma_f32 v22, v42, v68, -v35
	v_add_f32_e32 v19, v24, v24
	v_sub_f32_e32 v35, v12, v40
	v_sub_f32_e32 v42, v39, v46
	v_fma_f32 v46, v13, 2.0, -v21
	v_sub_f32_e32 v13, v26, v31
	v_add_f32_e32 v31, v28, v29
	v_pk_add_f32 v[24:25], v[24:25], v[32:33] neg_lo:[0,1] neg_hi:[0,1]
	v_mul_f32_e32 v16, v81, v63
	v_fmac_f32_e32 v30, v82, v64
	v_sub_f32_e32 v20, v59, v20
	v_fma_f32 v12, v12, 2.0, -v35
	v_sub_f32_e32 v40, v41, v22
	v_fma_f32 v39, v39, 2.0, -v42
	v_fma_f32 v63, v26, 2.0, -v13
	;; [unrolled: 1-line block ×3, first 2 shown]
	v_mul_f32_e32 v26, 0x3f3504f3, v31
	v_mov_b32_e32 v31, v24
	v_fma_f32 v22, v41, 2.0, -v40
	v_sub_f32_e32 v41, v12, v39
	v_sub_f32_e32 v39, v20, v42
	;; [unrolled: 1-line block ×3, first 2 shown]
	v_pk_add_f32 v[30:31], v[18:19], v[30:31] neg_lo:[0,1] neg_hi:[0,1]
	v_fma_f32 v43, v36, 2.0, -v42
	v_fma_f32 v19, v18, 2.0, -v30
	v_mov_b32_e32 v18, v33
	v_fmac_f32_e32 v34, v81, v62
	v_add_f32_e32 v62, v35, v40
	v_pk_add_f32 v[16:17], v[52:53], v[16:17] neg_lo:[0,1] neg_hi:[0,1]
	v_pk_add_f32 v[30:31], v[42:43], v[30:31] neg_lo:[0,1] neg_hi:[0,1]
	;; [unrolled: 1-line block ×3, first 2 shown]
	v_pk_add_f32 v[18:19], v[24:25], v[18:19]
	v_fma_f32 v35, v35, 2.0, -v62
	v_mul_f32_e32 v40, 0x3f3504f3, v62
	v_pk_add_f32 v[48:49], v[84:85], v[16:17] neg_lo:[0,1] neg_hi:[0,1]
	v_fma_f32 v60, v25, 2.0, -v51
	v_fma_f32 v16, v33, 2.0, -v18
	v_fmamk_f32 v24, v39, 0x3f3504f3, v30
	v_mov_b32_e32 v25, v31
	v_fma_f32 v38, v59, 2.0, -v20
	v_fma_f32 v20, v20, 2.0, -v39
	v_mov_b32_e32 v19, v51
	v_fmamk_f32 v66, v35, 0xbf3504f3, v16
	v_pk_add_f32 v[50:51], v[24:25], v[40:41] neg_lo:[0,1] neg_hi:[0,1]
	v_fmac_f32_e32 v66, 0x3f3504f3, v20
	v_pk_fma_f32 v[24:25], v[30:31], 2.0, v[50:51] op_sel_hi:[1,0,1] neg_lo:[0,0,1] neg_hi:[0,0,1]
	v_add_f32_e32 v15, v84, v84
	v_sub_f32_e32 v29, v38, v22
	v_fma_f32 v12, v12, 2.0, -v41
	v_mul_f32_e32 v47, 0x3f3504f3, v35
	v_fma_f32 v59, v16, 2.0, -v66
	v_pk_mul_f32 v[40:41], v[24:25], s[8:9]
	v_mul_f32_e32 v16, 0x3ec3ef15, v24
	v_sub_f32_e32 v24, v44, v45
	v_mov_b32_e32 v35, v48
	v_fma_f32 v22, v38, 2.0, -v29
	v_fma_f32 v38, v43, 2.0, -v31
	;; [unrolled: 1-line block ×4, first 2 shown]
	v_pk_add_f32 v[30:31], v[14:15], v[34:35] neg_lo:[0,1] neg_hi:[0,1]
	v_mov_b32_e32 v42, v18
	v_fma_f32 v15, v14, 2.0, -v30
	v_pk_add_f32 v[30:31], v[24:25], v[30:31] neg_lo:[0,1] neg_hi:[0,1]
	v_mov_b32_e32 v14, v17
	v_fma_f32 v37, v37, 2.0, -v28
	v_mul_f32_e32 v28, 0x3f3504f3, v39
	v_sub_f32_e32 v61, v60, v12
	v_fmac_f32_e32 v42, 0x3f3504f3, v62
	v_mov_b32_e32 v43, v19
	v_fma_f32 v12, v24, 2.0, -v30
	v_pk_add_f32 v[44:45], v[48:49], v[14:15]
	v_sub_f32_e32 v27, v37, v27
	v_pk_add_f32 v[28:29], v[42:43], v[28:29]
	v_fmamk_f32 v34, v63, 0xbf3504f3, v12
	v_fmamk_f32 v52, v13, 0x3f3504f3, v30
	v_fma_f32 v62, v17, 2.0, -v44
	v_mov_b32_e32 v53, v31
	v_pk_fma_f32 v[18:19], v[18:19], 2.0, v[28:29] op_sel_hi:[1,0,1] neg_lo:[0,0,1] neg_hi:[0,0,1]
	v_fmac_f32_e32 v34, 0xbf3504f3, v64
	v_fmamk_f32 v39, v64, 0xbf3504f3, v62
	v_pk_add_f32 v[64:65], v[52:53], v[26:27] neg_lo:[0,1] neg_hi:[0,1]
	v_fmamk_f32 v33, v20, 0xbf3504f3, v36
	v_pk_mul_f32 v[42:43], v[18:19], s[12:13]
	v_fma_f32 v20, v12, 2.0, -v34
	v_fma_f32 v12, v25, 2.0, -v31
	v_pk_add_f32 v[24:25], v[48:49], v[14:15] neg_lo:[0,1] neg_hi:[0,1]
	v_pk_fma_f32 v[30:31], v[30:31], 2.0, v[64:65] op_sel_hi:[1,0,1] neg_lo:[0,0,1] neg_hi:[0,0,1]
	v_mov_b32_e32 v17, v41
	v_add_f32_e32 v32, v49, v49
	v_mul_f32_e32 v18, 0x3f6c835e, v18
	v_sub_f32_e32 v23, v12, v46
	v_pk_add_f32 v[14:15], v[30:31], v[16:17] neg_lo:[0,1] neg_hi:[0,1]
	v_mov_b32_e32 v19, v43
	v_mov_b32_e32 v46, v25
	v_fma_f32 v24, v12, 2.0, -v23
	v_pk_add_f32 v[14:15], v[14:15], v[18:19] neg_lo:[0,1] neg_hi:[0,1]
	v_sub_f32_e32 v12, v23, v61
	v_pk_add_f32 v[48:49], v[32:33], v[46:47] neg_lo:[0,1] neg_hi:[0,1]
	v_fmamk_f32 v19, v50, 0x3f6c835e, v64
	v_pk_mul_f32 v[50:51], v[50:51], s[12:13]
	v_fmac_f32_e32 v39, 0x3f3504f3, v63
	v_fma_f32 v18, v31, 2.0, -v15
	v_fma_f32 v45, v30, 2.0, -v14
	;; [unrolled: 1-line block ×3, first 2 shown]
	v_mul_f32_e32 v23, 0x3ec3ef15, v66
	v_mul_f32_e32 v30, 0x3ec3ef15, v49
	v_mov_b32_e32 v35, v65
	v_mov_b32_e32 v31, v51
	v_pk_add_f32 v[46:47], v[38:39], v[22:23] neg_lo:[0,1] neg_hi:[0,1]
	v_fma_f32 v63, v36, 2.0, -v49
	v_fmac_f32_e32 v19, 0xbec3ef15, v28
	v_pk_mul_f32 v[52:53], v[28:29], s[8:9]
	v_pk_add_f32 v[28:29], v[34:35], v[30:31]
	v_mul_u32_u24_e32 v31, 0xa0, v73
	v_fma_f32 v17, v38, 2.0, -v46
	v_fmamk_f32 v33, v63, 0xbf6c835e, v20
	v_or_b32_sdwa v31, v31, v88 dst_sel:DWORD dst_unused:UNUSED_PAD src0_sel:DWORD src1_sel:BYTE_0
	v_mul_f32_e32 v16, 0x3f6c835e, v66
	v_sub_f32_e32 v32, v24, v17
	v_fmac_f32_e32 v33, 0xbec3ef15, v59
	v_mov_b32_e32 v17, v53
	v_lshlrev_b32_e32 v31, 2, v31
	v_fma_f32 v24, v24, 2.0, -v32
	v_fma_f32 v20, v20, 2.0, -v33
	v_pk_add_f32 v[16:17], v[28:29], v[16:17] neg_lo:[0,1] neg_hi:[0,1]
	v_add3_u32 v58, 0, v31, v58
	v_fma_f32 v28, v34, 2.0, -v16
	v_fma_f32 v29, v65, 2.0, -v17
	;; [unrolled: 1-line block ×3, first 2 shown]
	ds_write2_b32 v58, v24, v20 offset1:10
	ds_write2_b32 v58, v18, v45 offset0:20 offset1:30
	ds_write2_b32 v58, v67, v28 offset0:40 offset1:50
	;; [unrolled: 1-line block ×7, first 2 shown]
	v_add_u32_e32 v18, 0x200, v55
	s_waitcnt lgkmcnt(0)
	s_barrier
	ds_read2_b32 v[28:29], v18 offset0:32 offset1:192
	v_add_u32_e32 v18, 0x700, v55
	ds_read2_b32 v[30:31], v18 offset0:32 offset1:192
	ds_read2_b32 v[32:33], v57 offset0:32 offset1:192
	v_add_u32_e32 v18, 0x1100, v55
	ds_read2_b32 v[34:35], v18 offset0:32 offset1:192
	ds_read_b32 v24, v56
	ds_read_b32 v36, v55 offset:5760
	s_and_saveexec_b64 s[8:9], s[2:3]
	s_xor_b64 s[8:9], exec, s[8:9]
	s_or_saveexec_b64 s[8:9], s[8:9]
	v_mul_f32_e32 v20, 0x3f3504f3, v13
	s_xor_b64 exec, exec, s[8:9]
	s_cbranch_execz .LBB0_21
; %bb.20:
	v_add_u32_e32 v0, 0x100, v55
	ds_read2_b32 v[16:17], v0 offset0:36 offset1:196
	v_add_u32_e32 v0, 0x600, v55
	ds_read2_b32 v[12:13], v0 offset0:36 offset1:196
	;; [unrolled: 2-line block ×5, first 2 shown]
	s_waitcnt lgkmcnt(2)
	v_mov_b32_e32 v6, v15
	v_mov_b32_e32 v7, v14
	;; [unrolled: 1-line block ×5, first 2 shown]
	s_waitcnt lgkmcnt(1)
	v_mov_b32_e32 v17, v18
.LBB0_21:
	s_or_b64 exec, exec, s[8:9]
	v_fma_f32 v64, v37, 2.0, -v27
	v_add_f32_e32 v26, v44, v26
	v_mov_b32_e32 v27, v25
	v_fma_f32 v13, v60, 2.0, -v61
	v_mov_b32_e32 v45, v25
	v_pk_add_f32 v[60:61], v[26:27], v[20:21]
	s_mov_b32 s9, 0x3f6c835e
	v_pk_fma_f32 v[26:27], v[44:45], 2.0, v[60:61] op_sel_hi:[1,0,1] neg_lo:[0,0,1] neg_hi:[0,0,1]
	v_mov_b32_e32 v65, 0x3f6c835e
	v_pk_add_f32 v[20:21], v[26:27], v[42:43] neg_lo:[0,1] neg_hi:[0,1]
	v_pk_add_f32 v[22:23], v[38:39], v[22:23]
	v_pk_add_f32 v[20:21], v[40:41], v[20:21]
	v_pk_mul_f32 v[40:41], v[48:49], s[8:9]
	v_fma_f32 v37, v27, 2.0, -v21
	v_fma_f32 v42, v26, 2.0, -v20
	v_pk_add_f32 v[26:27], v[48:49], v[64:65] neg_lo:[0,1] neg_hi:[0,1]
	v_fma_f32 v18, v62, 2.0, -v39
	v_mov_b32_e32 v27, v41
	v_fma_f32 v40, v48, 2.0, -v26
	v_mov_b32_e32 v47, v23
	v_fmamk_f32 v25, v59, 0xbf6c835e, v18
	v_sub_f32_e32 v13, v40, v13
	v_pk_add_f32 v[22:23], v[26:27], v[46:47]
	v_fma_f32 v38, v40, 2.0, -v13
	v_fmamk_f32 v25, v63, 0x3ec3ef15, v25
	v_fma_f32 v40, v26, 2.0, -v22
	v_pk_add_f32 v[26:27], v[60:61], v[52:53]
	v_fma_f32 v18, v18, 2.0, -v25
	v_pk_add_f32 v[26:27], v[50:51], v[26:27]
	v_fma_f32 v39, v39, 2.0, -v23
	v_fma_f32 v41, v61, 2.0, -v27
	;; [unrolled: 1-line block ×3, first 2 shown]
	s_waitcnt lgkmcnt(0)
	s_barrier
	ds_write2_b32 v58, v38, v18 offset1:10
	ds_write2_b32 v58, v37, v42 offset0:20 offset1:30
	ds_write2_b32 v58, v40, v39 offset0:40 offset1:50
	;; [unrolled: 1-line block ×7, first 2 shown]
	v_add_u32_e32 v13, 0x200, v55
	s_waitcnt lgkmcnt(0)
	s_barrier
	ds_read2_b32 v[38:39], v13 offset0:32 offset1:192
	v_add_u32_e32 v13, 0x700, v55
	ds_read2_b32 v[40:41], v13 offset0:32 offset1:192
	v_add_u32_e32 v13, 0xc00, v55
	;; [unrolled: 2-line block ×3, first 2 shown]
	ds_read2_b32 v[44:45], v13 offset0:32 offset1:192
	ds_read_b32 v25, v56
	ds_read_b32 v18, v55 offset:5760
	s_and_saveexec_b64 s[8:9], s[2:3]
	s_xor_b64 s[2:3], exec, s[8:9]
	s_cbranch_execnz .LBB0_25
; %bb.22:
	s_andn2_saveexec_b64 s[2:3], s[2:3]
	s_cbranch_execnz .LBB0_26
.LBB0_23:
	s_or_b64 exec, exec, s[2:3]
	s_and_saveexec_b64 s[2:3], s[0:1]
	s_cbranch_execnz .LBB0_27
.LBB0_24:
	s_endpgm
.LBB0_25:
                                        ; implicit-def: $vgpr55
	s_andn2_saveexec_b64 s[2:3], s[2:3]
	s_cbranch_execz .LBB0_23
.LBB0_26:
	v_add_u32_e32 v8, 0x100, v55
	ds_read2_b32 v[26:27], v8 offset0:36 offset1:196
	v_add_u32_e32 v8, 0x600, v55
	ds_read2_b32 v[22:23], v8 offset0:36 offset1:196
	;; [unrolled: 2-line block ×5, first 2 shown]
	s_waitcnt lgkmcnt(2)
	v_mov_b32_e32 v10, v21
	v_mov_b32_e32 v11, v20
	;; [unrolled: 1-line block ×4, first 2 shown]
	s_waitcnt lgkmcnt(1)
	v_mov_b32_e32 v26, v47
	v_mov_b32_e32 v27, v46
	s_or_b64 exec, exec, s[2:3]
	s_and_saveexec_b64 s[2:3], s[0:1]
	s_cbranch_execz .LBB0_24
.LBB0_27:
	v_mul_u32_u24_e32 v13, 9, v72
	v_lshlrev_b32_e32 v13, 3, v13
	global_load_dwordx2 v[64:65], v13, s[4:5] offset:1264
	global_load_dwordx4 v[46:49], v13, s[4:5] offset:1216
	global_load_dwordx4 v[50:53], v13, s[4:5] offset:1200
	;; [unrolled: 1-line block ×4, first 2 shown]
	v_mul_lo_u32 v13, s7, v4
	v_mul_lo_u32 v37, s6, v5
	v_mad_u64_u32 v[66:67], s[0:1], s6, v4, 0
	s_waitcnt lgkmcnt(4)
	v_mov_b32_e32 v74, v41
	v_mov_b32_e32 v80, v39
	s_waitcnt lgkmcnt(3)
	v_mov_b32_e32 v86, v43
	s_waitcnt lgkmcnt(2)
	v_mov_b32_e32 v92, v45
	v_mov_b32_e32 v68, v31
	;; [unrolled: 1-line block ×9, first 2 shown]
	v_add3_u32 v67, v67, v37, v13
	s_mov_b32 s0, 0xcccccccd
	v_mul_hi_u32 v4, v72, s0
	s_movk_i32 s3, 0xa0
	v_lshrrev_b32_e32 v4, 7, v4
	v_mul_lo_u32 v4, v4, s3
	s_mov_b32 s2, 0x3f737871
	s_mov_b32 s8, 0x3f167918
	v_lshl_add_u64 v[66:67], v[66:67], 3, s[10:11]
	v_sub_u32_e32 v4, v72, v4
	v_mov_b32_e32 v5, 0
	v_lshl_add_u64 v[2:3], v[2:3], 3, v[66:67]
	v_lshlrev_b32_e32 v4, 3, v4
	v_lshl_add_u64 v[66:67], v[2:3], 0, v[4:5]
	s_mov_b32 s6, 0x3e9e377a
	s_mov_b32 s12, 0xbf737871
	;; [unrolled: 1-line block ×3, first 2 shown]
	s_movk_i32 s0, 0x1000
	s_mov_b32 s10, 0x3f4f1bbd
	s_mov_b32 s14, 0xbf167918
	;; [unrolled: 1-line block ×3, first 2 shown]
	v_or_b32_e32 v4, 0x2800, v4
	s_waitcnt vmcnt(4) lgkmcnt(0)
	v_pk_mul_f32 v[94:95], v[18:19], v[64:65] op_sel_hi:[0,1]
	s_waitcnt vmcnt(3)
	v_mov_b32_e32 v96, v49
	v_mov_b32_e32 v97, v48
	s_waitcnt vmcnt(2)
	v_mov_b32_e32 v98, v53
	v_mov_b32_e32 v99, v52
	;; [unrolled: 3-line block ×4, first 2 shown]
	v_pk_mul_f32 v[40:41], v[40:41], v[46:47] op_sel_hi:[0,1]
	v_pk_mul_f32 v[42:43], v[42:43], v[56:57] op_sel_hi:[0,1]
	;; [unrolled: 1-line block ×4, first 2 shown]
	v_pk_fma_f32 v[104:105], v[36:37], v[64:65], v[94:95] op_sel:[0,0,1] op_sel_hi:[1,1,0] neg_lo:[0,0,1] neg_hi:[0,0,1]
	v_pk_fma_f32 v[36:37], v[36:37], v[64:65], v[94:95] op_sel:[0,0,1] op_sel_hi:[0,1,0]
	v_pk_mul_f32 v[64:65], v[74:75], v[96:97] op_sel_hi:[0,1]
	v_pk_mul_f32 v[74:75], v[80:81], v[98:99] op_sel_hi:[0,1]
	;; [unrolled: 1-line block ×4, first 2 shown]
	v_pk_fma_f32 v[92:93], v[30:31], v[46:47], v[40:41] op_sel:[0,0,1] op_sel_hi:[1,1,0] neg_lo:[0,0,1] neg_hi:[0,0,1]
	v_pk_fma_f32 v[30:31], v[30:31], v[46:47], v[40:41] op_sel:[0,0,1] op_sel_hi:[0,1,0]
	v_pk_fma_f32 v[40:41], v[32:33], v[56:57], v[42:43] op_sel:[0,0,1] op_sel_hi:[1,1,0] neg_lo:[0,0,1] neg_hi:[0,0,1]
	v_pk_fma_f32 v[32:33], v[32:33], v[56:57], v[42:43] op_sel:[0,0,1] op_sel_hi:[0,1,0]
	;; [unrolled: 2-line block ×4, first 2 shown]
	v_mov_b32_e32 v93, v31
	v_mov_b32_e32 v45, v29
	;; [unrolled: 1-line block ×3, first 2 shown]
	v_pk_add_f32 v[28:29], v[92:93], v[44:45]
	v_pk_fma_f32 v[38:39], v[68:69], v[48:49], v[64:65] neg_lo:[0,0,1] neg_hi:[0,0,1]
	v_pk_fma_f32 v[46:47], v[70:71], v[48:49], v[64:65] op_sel_hi:[0,1,1]
	v_pk_fma_f32 v[48:49], v[76:77], v[52:53], v[74:75] neg_lo:[0,0,1] neg_hi:[0,0,1]
	v_pk_fma_f32 v[50:51], v[78:79], v[52:53], v[74:75] op_sel_hi:[0,1,1]
	v_mov_b32_e32 v105, v37
	v_mov_b32_e32 v43, v35
	v_pk_add_f32 v[28:29], v[40:41], v[28:29]
	v_pk_fma_f32 v[52:53], v[82:83], v[58:59], v[80:81] neg_lo:[0,0,1] neg_hi:[0,0,1]
	v_pk_fma_f32 v[56:57], v[84:85], v[58:59], v[80:81] op_sel_hi:[0,1,1]
	v_pk_fma_f32 v[58:59], v[88:89], v[62:63], v[86:87] neg_lo:[0,0,1] neg_hi:[0,0,1]
	v_pk_fma_f32 v[60:61], v[90:91], v[62:63], v[86:87] op_sel_hi:[0,1,1]
	v_mov_b32_e32 v49, v51
	v_pk_add_f32 v[28:29], v[42:43], v[28:29]
	v_pk_add_f32 v[64:65], v[40:41], v[42:43]
	v_pk_add_f32 v[68:69], v[40:41], v[42:43] neg_lo:[0,1] neg_hi:[0,1]
	v_pk_add_f32 v[74:75], v[92:93], v[40:41] neg_lo:[0,1] neg_hi:[0,1]
	;; [unrolled: 1-line block ×5, first 2 shown]
	v_mov_b32_e32 v39, v47
	v_mov_b32_e32 v53, v57
	;; [unrolled: 1-line block ×3, first 2 shown]
	v_pk_add_f32 v[30:31], v[24:25], v[48:49]
	v_pk_add_f32 v[40:41], v[40:41], v[42:43]
	;; [unrolled: 1-line block ×5, first 2 shown]
	v_pk_add_f32 v[46:47], v[38:39], v[52:53] neg_lo:[0,1] neg_hi:[0,1]
	v_pk_add_f32 v[56:57], v[48:49], v[38:39] neg_lo:[0,1] neg_hi:[0,1]
	v_pk_fma_f32 v[64:65], v[64:65], 0.5, v[44:45] op_sel_hi:[1,0,1] neg_lo:[1,0,0] neg_hi:[1,0,0]
	v_pk_fma_f32 v[42:43], v[42:43], 0.5, v[44:45] op_sel_hi:[1,0,1] neg_lo:[1,0,0] neg_hi:[1,0,0]
	v_pk_add_f32 v[38:39], v[38:39], v[48:49] neg_lo:[0,1] neg_hi:[0,1]
	v_pk_add_f32 v[44:45], v[52:53], v[58:59] neg_lo:[0,1] neg_hi:[0,1]
	;; [unrolled: 1-line block ×3, first 2 shown]
	v_pk_add_f32 v[38:39], v[38:39], v[44:45]
	v_pk_add_f32 v[44:45], v[48:49], v[58:59]
	v_pk_fma_f32 v[32:33], v[32:33], 0.5, v[24:25] op_sel_hi:[1,0,1] neg_lo:[1,0,0] neg_hi:[1,0,0]
	v_pk_add_f32 v[30:31], v[30:31], v[52:53]
	v_pk_mul_f32 v[50:51], v[46:47], s[8:9] op_sel_hi:[1,0]
	v_pk_add_f32 v[56:57], v[56:57], v[60:61]
	v_pk_add_f32 v[60:61], v[92:93], v[104:105] neg_lo:[0,1] neg_hi:[0,1]
	v_pk_fma_f32 v[24:25], v[44:45], 0.5, v[24:25] op_sel_hi:[1,0,1] neg_lo:[1,0,0] neg_hi:[1,0,0]
	v_pk_mul_f32 v[44:45], v[46:47], s[2:3] op_sel_hi:[1,0]
	v_pk_mul_f32 v[46:47], v[68:69], s[2:3] op_sel_hi:[1,0]
	v_pk_add_f32 v[34:35], v[48:49], v[58:59] neg_lo:[0,1] neg_hi:[0,1]
	v_pk_add_f32 v[28:29], v[104:105], v[28:29]
	v_pk_add_f32 v[30:31], v[58:59], v[30:31]
	v_pk_mul_f32 v[62:63], v[60:61], s[2:3] op_sel_hi:[1,0]
	v_pk_mul_f32 v[48:49], v[60:61], s[8:9] op_sel_hi:[1,0]
	v_pk_add_f32 v[52:53], v[42:43], v[46:47] op_sel:[0,1] op_sel_hi:[1,0] neg_lo:[0,1] neg_hi:[0,1]
	v_pk_add_f32 v[42:43], v[42:43], v[46:47] op_sel:[0,1] op_sel_hi:[1,0]
	v_pk_add_f32 v[36:37], v[30:31], v[28:29]
	v_pk_mul_f32 v[70:71], v[68:69], s[8:9] op_sel_hi:[1,0]
	v_pk_add_f32 v[74:75], v[74:75], v[76:77]
	v_pk_add_f32 v[76:77], v[64:65], v[62:63] op_sel:[0,1] op_sel_hi:[1,0]
	v_pk_add_f32 v[62:63], v[64:65], v[62:63] op_sel:[0,1] op_sel_hi:[1,0] neg_lo:[0,1] neg_hi:[0,1]
	v_pk_add_f32 v[42:43], v[42:43], v[48:49] op_sel:[0,1] op_sel_hi:[1,0] neg_lo:[0,1] neg_hi:[0,1]
	v_pk_add_f32 v[46:47], v[52:53], v[48:49] op_sel:[0,1] op_sel_hi:[1,0]
	global_store_dwordx2 v[66:67], v[36:37], off
	v_pk_mul_f32 v[36:37], v[34:35], s[2:3] op_sel_hi:[1,0]
	v_pk_add_f32 v[62:63], v[62:63], v[70:71] op_sel:[0,1] op_sel_hi:[1,0] neg_lo:[0,1] neg_hi:[0,1]
	v_pk_add_f32 v[64:65], v[76:77], v[70:71] op_sel:[0,1] op_sel_hi:[1,0]
	v_pk_mul_f32 v[34:35], v[34:35], s[8:9] op_sel_hi:[1,0]
	v_mov_b32_e32 v48, v46
	v_mov_b32_e32 v49, v43
	v_pk_add_f32 v[52:53], v[24:25], v[44:45] op_sel:[0,1] op_sel_hi:[1,0] neg_lo:[0,1] neg_hi:[0,1]
	v_pk_add_f32 v[24:25], v[24:25], v[44:45] op_sel:[0,1] op_sel_hi:[1,0]
	v_mov_b32_e32 v43, v47
	v_mov_b32_e32 v70, v64
	;; [unrolled: 1-line block ×3, first 2 shown]
	v_pk_fma_f32 v[48:49], v[40:41], s[6:7], v[48:49] op_sel_hi:[1,0,1]
	v_pk_add_f32 v[24:25], v[24:25], v[34:35] op_sel:[0,1] op_sel_hi:[1,0] neg_lo:[0,1] neg_hi:[0,1]
	v_pk_add_f32 v[34:35], v[52:53], v[34:35] op_sel:[0,1] op_sel_hi:[1,0]
	v_pk_fma_f32 v[40:41], v[40:41], s[6:7], v[42:43] op_sel_hi:[1,0,1]
	v_pk_fma_f32 v[70:71], v[74:75], s[6:7], v[70:71] op_sel_hi:[1,0,1]
	v_pk_add_f32 v[76:77], v[32:33], v[36:37] op_sel:[0,1] op_sel_hi:[1,0]
	v_pk_add_f32 v[32:33], v[32:33], v[36:37] op_sel:[0,1] op_sel_hi:[1,0] neg_lo:[0,1] neg_hi:[0,1]
	v_mov_b32_e32 v44, v34
	v_mov_b32_e32 v45, v25
	;; [unrolled: 1-line block ×3, first 2 shown]
	v_pk_mul_f32 v[34:35], v[40:41], s[6:7] op_sel_hi:[1,0]
	v_pk_add_f32 v[32:33], v[32:33], v[50:51] op_sel:[0,1] op_sel_hi:[1,0] neg_lo:[0,1] neg_hi:[0,1]
	v_pk_add_f32 v[36:37], v[76:77], v[50:51] op_sel:[0,1] op_sel_hi:[1,0]
	v_pk_mul_f32 v[76:77], v[70:71], s[8:9] op_sel_hi:[1,0]
	v_pk_fma_f32 v[34:35], v[40:41], s[12:13], v[34:35] op_sel:[0,0,1] op_sel_hi:[1,1,0] neg_lo:[0,0,1] neg_hi:[0,0,1]
	v_add_co_u32_e64 v40, s[0:1], s0, v66
	v_mov_b32_e32 v50, v36
	v_mov_b32_e32 v51, v33
	v_pk_fma_f32 v[78:79], v[70:71], s[10:11], v[76:77] op_sel:[0,0,1] op_sel_hi:[1,0,0]
	v_pk_fma_f32 v[70:71], v[70:71], s[10:11], v[76:77] op_sel:[0,0,1] op_sel_hi:[1,0,0] neg_lo:[0,0,1] neg_hi:[0,0,1]
	v_pk_mul_f32 v[52:53], v[48:49], s[2:3] op_sel_hi:[1,0]
	v_pk_fma_f32 v[24:25], v[38:39], s[6:7], v[24:25] op_sel_hi:[1,0,1]
	v_addc_co_u32_e64 v41, s[0:1], 0, v67, s[0:1]
	v_pk_fma_f32 v[50:51], v[56:57], s[6:7], v[50:51] op_sel_hi:[1,0,1]
	v_mov_b32_e32 v79, v71
	v_pk_fma_f32 v[44:45], v[38:39], s[6:7], v[44:45] op_sel_hi:[1,0,1]
	v_pk_fma_f32 v[58:59], v[48:49], s[6:7], v[52:53] op_sel:[0,0,1] op_sel_hi:[1,0,0]
	v_pk_fma_f32 v[48:49], v[48:49], s[6:7], v[52:53] op_sel:[0,0,1] op_sel_hi:[1,0,0] neg_lo:[0,0,1] neg_hi:[0,0,1]
	v_pk_add_f32 v[38:39], v[24:25], v[34:35] op_sel:[0,1] op_sel_hi:[1,0]
	v_mov_b32_e32 v63, v65
	v_pk_add_f32 v[28:29], v[30:31], v[28:29] neg_lo:[0,1] neg_hi:[0,1]
	s_movk_i32 s0, 0x2000
	v_mov_b32_e32 v59, v49
	global_store_dwordx2 v[66:67], v[38:39], off offset:3840
	v_pk_fma_f32 v[38:39], v[74:75], s[6:7], v[62:63] op_sel_hi:[1,0,1]
	global_store_dwordx2 v[40:41], v[28:29], off offset:2304
	v_pk_add_f32 v[28:29], v[50:51], v[78:79] neg_lo:[0,1] neg_hi:[0,1]
	v_add_co_u32_e64 v30, s[0:1], s0, v66
	v_mov_b32_e32 v33, v37
	v_pk_mul_f32 v[36:37], v[38:39], s[10:11] op_sel_hi:[1,0]
	global_store_dwordx2 v[40:41], v[28:29], off offset:3584
	v_pk_add_f32 v[28:29], v[44:45], v[58:59] neg_lo:[0,1] neg_hi:[0,1]
	v_addc_co_u32_e64 v31, s[0:1], 0, v67, s[0:1]
	v_pk_fma_f32 v[32:33], v[56:57], s[6:7], v[32:33] op_sel_hi:[1,0,1]
	v_pk_fma_f32 v[36:37], v[38:39], s[14:15], v[36:37] op_sel:[0,0,1] op_sel_hi:[1,1,0] neg_lo:[0,0,1] neg_hi:[0,0,1]
	global_store_dwordx2 v[30:31], v[28:29], off offset:768
	v_lshl_add_u64 v[28:29], v[2:3], 0, v[4:5]
	v_pk_add_f32 v[24:25], v[24:25], v[34:35] op_sel:[0,1] op_sel_hi:[1,0] neg_lo:[0,1] neg_hi:[0,1]
	v_add_u32_e32 v18, 0x64, v72
	v_pk_add_f32 v[70:71], v[50:51], v[78:79]
	v_pk_add_f32 v[48:49], v[44:45], v[58:59]
	v_pk_add_f32 v[38:39], v[32:33], v[36:37] op_sel:[0,1] op_sel_hi:[1,0]
	global_store_dwordx2 v[28:29], v[24:25], off
	v_pk_add_f32 v[24:25], v[32:33], v[36:37] op_sel:[0,1] op_sel_hi:[1,0] neg_lo:[0,1] neg_hi:[0,1]
	v_cmp_gt_u32_e64 s[0:1], s3, v18
	global_store_dwordx2 v[66:67], v[70:71], off offset:1280
	global_store_dwordx2 v[66:67], v[48:49], off offset:2560
	;; [unrolled: 1-line block ×4, first 2 shown]
	s_and_b64 exec, exec, s[0:1]
	s_cbranch_execz .LBB0_24
; %bb.28:
	v_subrev_u32_e32 v4, 60, v72
	v_cndmask_b32_e32 v4, v4, v54, vcc
	v_mul_i32_i24_e32 v4, 9, v4
	v_lshl_add_u64 v[24:25], v[4:5], 3, s[4:5]
	global_load_dwordx4 v[28:31], v[24:25], off offset:1200
	global_load_dwordx4 v[32:35], v[24:25], off offset:1216
	;; [unrolled: 1-line block ×4, first 2 shown]
	global_load_dwordx2 v[44:45], v[24:25], off offset:1264
	v_mov_b32_e32 v4, v19
	v_mov_b32_e32 v19, v5
	s_waitcnt vmcnt(4)
	v_pk_mul_f32 v[24:25], v[14:15], v[28:29] op_sel_hi:[0,1]
	v_pk_mul_f32 v[46:47], v[22:23], v[30:31] op_sel_hi:[0,1]
	s_waitcnt vmcnt(3)
	v_pk_mul_f32 v[48:49], v[16:17], v[32:33] op_sel_hi:[0,1]
	v_pk_mul_f32 v[50:51], v[26:27], v[34:35] op_sel:[1,0]
	s_waitcnt vmcnt(2)
	v_pk_mul_f32 v[52:53], v[4:5], v[36:37] op_sel_hi:[0,1]
	v_pk_mul_f32 v[54:55], v[10:11], v[38:39] op_sel:[1,0]
	s_waitcnt vmcnt(1)
	v_pk_mul_f32 v[56:57], v[6:7], v[40:41] op_sel_hi:[0,1]
	v_pk_mul_f32 v[58:59], v[8:9], v[42:43] op_sel_hi:[0,1]
	s_waitcnt vmcnt(0)
	v_pk_mul_f32 v[60:61], v[0:1], v[44:45] op_sel:[1,0]
	v_pk_fma_f32 v[62:63], v[20:21], v[28:29], v[24:25] op_sel:[0,0,1] op_sel_hi:[1,1,0]
	v_pk_fma_f32 v[24:25], v[20:21], v[28:29], v[24:25] op_sel:[0,0,1] op_sel_hi:[0,1,0] neg_lo:[1,0,0] neg_hi:[1,0,0]
	v_pk_fma_f32 v[28:29], v[12:13], v[30:31], v[46:47] op_sel:[0,0,1] op_sel_hi:[1,1,0] neg_lo:[0,0,1] neg_hi:[0,0,1]
	v_pk_fma_f32 v[12:13], v[12:13], v[30:31], v[46:47] op_sel:[0,0,1] op_sel_hi:[0,1,0]
	v_pk_fma_f32 v[30:31], v[22:23], v[32:33], v[48:49] op_sel:[1,0,1] op_sel_hi:[1,1,0]
	v_pk_fma_f32 v[22:23], v[22:23], v[32:33], v[48:49] op_sel:[1,0,1] op_sel_hi:[1,1,0] neg_lo:[1,0,0] neg_hi:[1,0,0]
	v_pk_fma_f32 v[32:33], v[16:17], v[34:35], v[50:51] op_sel:[1,0,1] op_sel_hi:[1,1,0] neg_lo:[0,0,1] neg_hi:[0,0,1]
	v_pk_fma_f32 v[16:17], v[16:17], v[34:35], v[50:51] op_sel:[1,0,1] op_sel_hi:[1,1,0]
	;; [unrolled: 4-line block ×4, first 2 shown]
	v_pk_fma_f32 v[42:43], v[8:9], v[44:45], v[60:61] op_sel:[1,0,1] op_sel_hi:[1,1,0]
	v_pk_fma_f32 v[8:9], v[8:9], v[44:45], v[60:61] op_sel:[1,0,1] op_sel_hi:[1,1,0] neg_lo:[1,0,0] neg_hi:[1,0,0]
	v_mov_b32_e32 v29, v13
	v_mov_b32_e32 v33, v17
	;; [unrolled: 1-line block ×10, first 2 shown]
	v_pk_add_f32 v[0:1], v[32:33], v[36:37]
	v_pk_add_f32 v[10:11], v[28:29], v[32:33] neg_lo:[0,1] neg_hi:[0,1]
	v_pk_add_f32 v[12:13], v[40:41], v[36:37] neg_lo:[0,1] neg_hi:[0,1]
	v_pk_add_f32 v[14:15], v[34:35], v[38:39]
	v_pk_add_f32 v[6:7], v[28:29], v[40:41] neg_lo:[0,1] neg_hi:[0,1]
	v_pk_add_f32 v[16:17], v[30:31], v[42:43] neg_lo:[0,1] neg_hi:[0,1]
	v_pk_add_f32 v[24:25], v[30:31], v[34:35] neg_lo:[0,1] neg_hi:[0,1]
	v_pk_add_f32 v[26:27], v[42:43], v[38:39] neg_lo:[0,1] neg_hi:[0,1]
	v_pk_add_f32 v[44:45], v[20:21], v[28:29]
	v_pk_add_f32 v[46:47], v[62:63], v[30:31]
	v_pk_fma_f32 v[0:1], v[0:1], 0.5, v[20:21] op_sel_hi:[1,0,1] neg_lo:[1,0,0] neg_hi:[1,0,0]
	v_pk_add_f32 v[10:11], v[10:11], v[12:13]
	v_pk_fma_f32 v[12:13], v[14:15], 0.5, v[62:63] op_sel_hi:[1,0,1] neg_lo:[1,0,0] neg_hi:[1,0,0]
	v_pk_add_f32 v[8:9], v[32:33], v[36:37] neg_lo:[0,1] neg_hi:[0,1]
	v_pk_add_f32 v[22:23], v[34:35], v[38:39] neg_lo:[0,1] neg_hi:[0,1]
	v_pk_add_f32 v[14:15], v[24:25], v[26:27]
	v_pk_add_f32 v[24:25], v[44:45], v[32:33]
	;; [unrolled: 1-line block ×3, first 2 shown]
	v_pk_fma_f32 v[44:45], v[6:7], s[2:3], v[0:1] op_sel:[1,0,0] op_sel_hi:[0,0,1] neg_lo:[1,0,0] neg_hi:[1,0,0]
	v_pk_fma_f32 v[0:1], v[6:7], s[2:3], v[0:1] op_sel:[1,0,0] op_sel_hi:[0,0,1]
	v_pk_fma_f32 v[46:47], v[16:17], s[2:3], v[12:13] op_sel:[1,0,0] op_sel_hi:[0,0,1]
	v_pk_fma_f32 v[12:13], v[16:17], s[2:3], v[12:13] op_sel:[1,0,0] op_sel_hi:[0,0,1] neg_lo:[1,0,0] neg_hi:[1,0,0]
	v_pk_fma_f32 v[0:1], v[8:9], s[8:9], v[0:1] op_sel:[1,0,0] op_sel_hi:[0,0,1]
	v_pk_fma_f32 v[44:45], v[8:9], s[8:9], v[44:45] op_sel:[1,0,0] op_sel_hi:[0,0,1] neg_lo:[1,0,0] neg_hi:[1,0,0]
	v_pk_fma_f32 v[12:13], v[22:23], s[8:9], v[12:13] op_sel:[1,0,0] op_sel_hi:[0,0,1] neg_lo:[1,0,0] neg_hi:[1,0,0]
	v_pk_fma_f32 v[46:47], v[22:23], s[8:9], v[46:47] op_sel:[1,0,0] op_sel_hi:[0,0,1]
	v_mov_b32_e32 v48, v44
	v_mov_b32_e32 v49, v1
	;; [unrolled: 1-line block ×6, first 2 shown]
	s_mov_b32 s9, s14
	v_pk_fma_f32 v[44:45], v[10:11], s[6:7], v[48:49] op_sel_hi:[1,0,1]
	v_pk_fma_f32 v[46:47], v[14:15], s[6:7], v[50:51] op_sel_hi:[1,0,1]
	;; [unrolled: 1-line block ×4, first 2 shown]
	v_pk_mul_f32 v[12:13], v[46:47], s[10:11] op_sel_hi:[1,0]
	v_pk_mul_f32 v[14:15], v[10:11], s[8:9] op_sel_hi:[1,0]
	v_pk_fma_f32 v[12:13], v[46:47], s[8:9], v[12:13] op_sel:[0,0,1] op_sel_hi:[1,1,0] neg_lo:[0,0,1] neg_hi:[0,0,1]
	v_pk_fma_f32 v[46:47], v[10:11], s[10:11], v[14:15] op_sel:[0,0,1] op_sel_hi:[1,0,0]
	v_pk_fma_f32 v[10:11], v[10:11], s[10:11], v[14:15] op_sel:[0,0,1] op_sel_hi:[1,0,0] neg_lo:[0,0,1] neg_hi:[0,0,1]
	v_mov_b32_e32 v14, v47
	v_pk_add_f32 v[46:47], v[28:29], v[40:41]
	v_pk_add_f32 v[28:29], v[32:33], v[28:29] neg_lo:[0,1] neg_hi:[0,1]
	v_pk_fma_f32 v[20:21], v[46:47], 0.5, v[20:21] op_sel_hi:[1,0,1] neg_lo:[1,0,0] neg_hi:[1,0,0]
	v_pk_add_f32 v[32:33], v[36:37], v[40:41] neg_lo:[0,1] neg_hi:[0,1]
	v_pk_add_f32 v[24:25], v[24:25], v[36:37]
	v_pk_add_f32 v[28:29], v[28:29], v[32:33]
	v_pk_fma_f32 v[32:33], v[8:9], s[2:3], v[20:21] op_sel:[1,0,0] op_sel_hi:[0,0,1]
	v_pk_fma_f32 v[8:9], v[8:9], s[2:3], v[20:21] op_sel:[1,0,0] op_sel_hi:[0,0,1] neg_lo:[1,0,0] neg_hi:[1,0,0]
	v_pk_fma_f32 v[8:9], v[6:7], s[8:9], v[8:9] op_sel:[1,0,0] op_sel_hi:[0,0,1]
	v_pk_fma_f32 v[6:7], v[6:7], s[8:9], v[32:33] op_sel:[1,0,0] op_sel_hi:[0,0,1] neg_lo:[1,0,0] neg_hi:[1,0,0]
	v_pk_add_f32 v[32:33], v[30:31], v[42:43]
	v_pk_add_f32 v[30:31], v[34:35], v[30:31] neg_lo:[0,1] neg_hi:[0,1]
	v_pk_fma_f32 v[32:33], v[32:33], 0.5, v[62:63] op_sel_hi:[1,0,1] neg_lo:[1,0,0] neg_hi:[1,0,0]
	v_pk_add_f32 v[34:35], v[38:39], v[42:43] neg_lo:[0,1] neg_hi:[0,1]
	v_mov_b32_e32 v21, v9
	v_pk_add_f32 v[30:31], v[30:31], v[34:35]
	v_pk_fma_f32 v[34:35], v[22:23], s[2:3], v[32:33] op_sel:[1,0,0] op_sel_hi:[0,0,1] neg_lo:[1,0,0] neg_hi:[1,0,0]
	v_pk_fma_f32 v[22:23], v[22:23], s[2:3], v[32:33] op_sel:[1,0,0] op_sel_hi:[0,0,1]
	v_pk_fma_f32 v[22:23], v[16:17], s[8:9], v[22:23] op_sel:[1,0,0] op_sel_hi:[0,0,1] neg_lo:[1,0,0] neg_hi:[1,0,0]
	v_pk_fma_f32 v[16:17], v[16:17], s[8:9], v[34:35] op_sel:[1,0,0] op_sel_hi:[0,0,1]
	v_mov_b32_e32 v33, v23
	v_mov_b32_e32 v9, v7
	;; [unrolled: 1-line block ×4, first 2 shown]
	s_mov_b32 s3, s12
	v_pk_fma_f32 v[6:7], v[28:29], s[6:7], v[8:9] op_sel_hi:[1,0,1]
	v_pk_fma_f32 v[8:9], v[30:31], s[6:7], v[22:23] op_sel_hi:[1,0,1]
	v_mov_b32_e32 v32, v16
	v_pk_mul_f32 v[16:17], v[8:9], s[2:3] op_sel_hi:[1,0]
	v_pk_add_f32 v[26:27], v[26:27], v[38:39]
	v_pk_fma_f32 v[22:23], v[8:9], s[6:7], v[16:17] op_sel:[0,0,1] op_sel_hi:[1,0,0]
	v_pk_fma_f32 v[8:9], v[8:9], s[6:7], v[16:17] op_sel:[0,0,1] op_sel_hi:[1,0,0] neg_lo:[0,0,1] neg_hi:[0,0,1]
	v_pk_add_f32 v[24:25], v[24:25], v[40:41]
	v_pk_add_f32 v[26:27], v[26:27], v[42:43]
	v_mov_b32_e32 v16, v23
	v_mov_b32_e32 v17, v8
	v_pk_add_f32 v[52:53], v[24:25], v[26:27] op_sel:[0,1] op_sel_hi:[1,0]
	v_mov_b32_e32 v15, v10
	v_pk_fma_f32 v[32:33], v[30:31], s[6:7], v[32:33] op_sel_hi:[1,0,1]
	v_pk_add_f32 v[8:9], v[6:7], v[16:17]
	v_pk_add_f32 v[6:7], v[6:7], v[16:17] neg_lo:[0,1] neg_hi:[0,1]
	v_lshl_add_u64 v[16:17], v[18:19], 3, v[2:3]
	v_add_u32_e32 v4, 0x104, v72
	v_pk_add_f32 v[10:11], v[0:1], v[14:15]
	v_pk_mul_f32 v[34:35], v[32:33], s[6:7] op_sel_hi:[1,0]
	global_store_dwordx2 v[16:17], v[52:53], off
	v_lshl_add_u64 v[16:17], v[4:5], 3, v[2:3]
	v_add_u32_e32 v4, 0x1a4, v72
	v_pk_fma_f32 v[20:21], v[28:29], s[6:7], v[20:21] op_sel_hi:[1,0,1]
	v_pk_fma_f32 v[32:33], v[32:33], s[2:3], v[34:35] op_sel:[0,0,1] op_sel_hi:[1,1,0] neg_lo:[0,0,1] neg_hi:[0,0,1]
	global_store_dwordx2 v[16:17], v[10:11], off
	v_lshl_add_u64 v[10:11], v[4:5], 3, v[2:3]
	v_add_u32_e32 v4, 0x244, v72
	v_pk_add_f32 v[22:23], v[20:21], v[32:33]
	global_store_dwordx2 v[10:11], v[8:9], off
	v_lshl_add_u64 v[8:9], v[4:5], 3, v[2:3]
	v_add_u32_e32 v4, 0x2e4, v72
	v_pk_add_f32 v[28:29], v[44:45], v[12:13]
	global_store_dwordx2 v[8:9], v[22:23], off
	v_lshl_add_u64 v[8:9], v[4:5], 3, v[2:3]
	v_add_u32_e32 v4, 0x384, v72
	v_pk_add_f32 v[24:25], v[24:25], v[26:27] op_sel:[0,1] op_sel_hi:[1,0] neg_lo:[0,1] neg_hi:[0,1]
	global_store_dwordx2 v[8:9], v[28:29], off
	v_lshl_add_u64 v[8:9], v[4:5], 3, v[2:3]
	v_add_u32_e32 v4, 0x424, v72
	v_pk_add_f32 v[0:1], v[0:1], v[14:15] neg_lo:[0,1] neg_hi:[0,1]
	global_store_dwordx2 v[8:9], v[24:25], off
	v_lshl_add_u64 v[8:9], v[4:5], 3, v[2:3]
	v_add_u32_e32 v4, 0x4c4, v72
	global_store_dwordx2 v[8:9], v[0:1], off
	v_lshl_add_u64 v[0:1], v[4:5], 3, v[2:3]
	v_add_u32_e32 v4, 0x564, v72
	v_pk_add_f32 v[14:15], v[20:21], v[32:33] neg_lo:[0,1] neg_hi:[0,1]
	global_store_dwordx2 v[0:1], v[6:7], off
	v_lshl_add_u64 v[0:1], v[4:5], 3, v[2:3]
	v_add_u32_e32 v4, 0x604, v72
	v_pk_add_f32 v[12:13], v[44:45], v[12:13] neg_lo:[0,1] neg_hi:[0,1]
	global_store_dwordx2 v[0:1], v[14:15], off
	v_lshl_add_u64 v[0:1], v[4:5], 3, v[2:3]
	global_store_dwordx2 v[0:1], v[12:13], off
	s_endpgm
	.section	.rodata,"a",@progbits
	.p2align	6, 0x0
	.amdhsa_kernel fft_rtc_fwd_len1600_factors_10_16_10_wgs_200_tpt_100_halfLds_sp_op_CI_CI_unitstride_sbrr_dirReg
		.amdhsa_group_segment_fixed_size 0
		.amdhsa_private_segment_fixed_size 0
		.amdhsa_kernarg_size 104
		.amdhsa_user_sgpr_count 2
		.amdhsa_user_sgpr_dispatch_ptr 0
		.amdhsa_user_sgpr_queue_ptr 0
		.amdhsa_user_sgpr_kernarg_segment_ptr 1
		.amdhsa_user_sgpr_dispatch_id 0
		.amdhsa_user_sgpr_kernarg_preload_length 0
		.amdhsa_user_sgpr_kernarg_preload_offset 0
		.amdhsa_user_sgpr_private_segment_size 0
		.amdhsa_uses_dynamic_stack 0
		.amdhsa_enable_private_segment 0
		.amdhsa_system_sgpr_workgroup_id_x 1
		.amdhsa_system_sgpr_workgroup_id_y 0
		.amdhsa_system_sgpr_workgroup_id_z 0
		.amdhsa_system_sgpr_workgroup_info 0
		.amdhsa_system_vgpr_workitem_id 0
		.amdhsa_next_free_vgpr 106
		.amdhsa_next_free_sgpr 28
		.amdhsa_accum_offset 108
		.amdhsa_reserve_vcc 1
		.amdhsa_float_round_mode_32 0
		.amdhsa_float_round_mode_16_64 0
		.amdhsa_float_denorm_mode_32 3
		.amdhsa_float_denorm_mode_16_64 3
		.amdhsa_dx10_clamp 1
		.amdhsa_ieee_mode 1
		.amdhsa_fp16_overflow 0
		.amdhsa_tg_split 0
		.amdhsa_exception_fp_ieee_invalid_op 0
		.amdhsa_exception_fp_denorm_src 0
		.amdhsa_exception_fp_ieee_div_zero 0
		.amdhsa_exception_fp_ieee_overflow 0
		.amdhsa_exception_fp_ieee_underflow 0
		.amdhsa_exception_fp_ieee_inexact 0
		.amdhsa_exception_int_div_zero 0
	.end_amdhsa_kernel
	.text
.Lfunc_end0:
	.size	fft_rtc_fwd_len1600_factors_10_16_10_wgs_200_tpt_100_halfLds_sp_op_CI_CI_unitstride_sbrr_dirReg, .Lfunc_end0-fft_rtc_fwd_len1600_factors_10_16_10_wgs_200_tpt_100_halfLds_sp_op_CI_CI_unitstride_sbrr_dirReg
                                        ; -- End function
	.section	.AMDGPU.csdata,"",@progbits
; Kernel info:
; codeLenInByte = 9400
; NumSgprs: 34
; NumVgprs: 106
; NumAgprs: 0
; TotalNumVgprs: 106
; ScratchSize: 0
; MemoryBound: 0
; FloatMode: 240
; IeeeMode: 1
; LDSByteSize: 0 bytes/workgroup (compile time only)
; SGPRBlocks: 4
; VGPRBlocks: 13
; NumSGPRsForWavesPerEU: 34
; NumVGPRsForWavesPerEU: 106
; AccumOffset: 108
; Occupancy: 4
; WaveLimiterHint : 1
; COMPUTE_PGM_RSRC2:SCRATCH_EN: 0
; COMPUTE_PGM_RSRC2:USER_SGPR: 2
; COMPUTE_PGM_RSRC2:TRAP_HANDLER: 0
; COMPUTE_PGM_RSRC2:TGID_X_EN: 1
; COMPUTE_PGM_RSRC2:TGID_Y_EN: 0
; COMPUTE_PGM_RSRC2:TGID_Z_EN: 0
; COMPUTE_PGM_RSRC2:TIDIG_COMP_CNT: 0
; COMPUTE_PGM_RSRC3_GFX90A:ACCUM_OFFSET: 26
; COMPUTE_PGM_RSRC3_GFX90A:TG_SPLIT: 0
	.text
	.p2alignl 6, 3212836864
	.fill 256, 4, 3212836864
	.type	__hip_cuid_48daf706d927bb0,@object ; @__hip_cuid_48daf706d927bb0
	.section	.bss,"aw",@nobits
	.globl	__hip_cuid_48daf706d927bb0
__hip_cuid_48daf706d927bb0:
	.byte	0                               ; 0x0
	.size	__hip_cuid_48daf706d927bb0, 1

	.ident	"AMD clang version 19.0.0git (https://github.com/RadeonOpenCompute/llvm-project roc-6.4.0 25133 c7fe45cf4b819c5991fe208aaa96edf142730f1d)"
	.section	".note.GNU-stack","",@progbits
	.addrsig
	.addrsig_sym __hip_cuid_48daf706d927bb0
	.amdgpu_metadata
---
amdhsa.kernels:
  - .agpr_count:     0
    .args:
      - .actual_access:  read_only
        .address_space:  global
        .offset:         0
        .size:           8
        .value_kind:     global_buffer
      - .offset:         8
        .size:           8
        .value_kind:     by_value
      - .actual_access:  read_only
        .address_space:  global
        .offset:         16
        .size:           8
        .value_kind:     global_buffer
      - .actual_access:  read_only
        .address_space:  global
        .offset:         24
        .size:           8
        .value_kind:     global_buffer
      - .actual_access:  read_only
        .address_space:  global
        .offset:         32
        .size:           8
        .value_kind:     global_buffer
      - .offset:         40
        .size:           8
        .value_kind:     by_value
      - .actual_access:  read_only
        .address_space:  global
        .offset:         48
        .size:           8
        .value_kind:     global_buffer
      - .actual_access:  read_only
        .address_space:  global
        .offset:         56
        .size:           8
        .value_kind:     global_buffer
      - .offset:         64
        .size:           4
        .value_kind:     by_value
      - .actual_access:  read_only
        .address_space:  global
        .offset:         72
        .size:           8
        .value_kind:     global_buffer
      - .actual_access:  read_only
        .address_space:  global
        .offset:         80
        .size:           8
        .value_kind:     global_buffer
      - .actual_access:  read_only
        .address_space:  global
        .offset:         88
        .size:           8
        .value_kind:     global_buffer
      - .actual_access:  write_only
        .address_space:  global
        .offset:         96
        .size:           8
        .value_kind:     global_buffer
    .group_segment_fixed_size: 0
    .kernarg_segment_align: 8
    .kernarg_segment_size: 104
    .language:       OpenCL C
    .language_version:
      - 2
      - 0
    .max_flat_workgroup_size: 200
    .name:           fft_rtc_fwd_len1600_factors_10_16_10_wgs_200_tpt_100_halfLds_sp_op_CI_CI_unitstride_sbrr_dirReg
    .private_segment_fixed_size: 0
    .sgpr_count:     34
    .sgpr_spill_count: 0
    .symbol:         fft_rtc_fwd_len1600_factors_10_16_10_wgs_200_tpt_100_halfLds_sp_op_CI_CI_unitstride_sbrr_dirReg.kd
    .uniform_work_group_size: 1
    .uses_dynamic_stack: false
    .vgpr_count:     106
    .vgpr_spill_count: 0
    .wavefront_size: 64
amdhsa.target:   amdgcn-amd-amdhsa--gfx950
amdhsa.version:
  - 1
  - 2
...

	.end_amdgpu_metadata
